;; amdgpu-corpus repo=ROCm/rocFFT kind=compiled arch=gfx1201 opt=O3
	.text
	.amdgcn_target "amdgcn-amd-amdhsa--gfx1201"
	.amdhsa_code_object_version 6
	.protected	fft_rtc_fwd_len3750_factors_3_5_5_10_5_wgs_125_tpt_125_halfLds_half_ip_CI_unitstride_sbrr_dirReg ; -- Begin function fft_rtc_fwd_len3750_factors_3_5_5_10_5_wgs_125_tpt_125_halfLds_half_ip_CI_unitstride_sbrr_dirReg
	.globl	fft_rtc_fwd_len3750_factors_3_5_5_10_5_wgs_125_tpt_125_halfLds_half_ip_CI_unitstride_sbrr_dirReg
	.p2align	8
	.type	fft_rtc_fwd_len3750_factors_3_5_5_10_5_wgs_125_tpt_125_halfLds_half_ip_CI_unitstride_sbrr_dirReg,@function
fft_rtc_fwd_len3750_factors_3_5_5_10_5_wgs_125_tpt_125_halfLds_half_ip_CI_unitstride_sbrr_dirReg: ; @fft_rtc_fwd_len3750_factors_3_5_5_10_5_wgs_125_tpt_125_halfLds_half_ip_CI_unitstride_sbrr_dirReg
; %bb.0:
	s_clause 0x2
	s_load_b128 s[4:7], s[0:1], 0x0
	s_load_b64 s[8:9], s[0:1], 0x50
	s_load_b64 s[10:11], s[0:1], 0x18
	v_mul_u32_u24_e32 v1, 0x20d, v0
	v_mov_b32_e32 v3, 0
	s_delay_alu instid0(VALU_DEP_2) | instskip(NEXT) | instid1(VALU_DEP_1)
	v_lshrrev_b32_e32 v1, 16, v1
	v_add_nc_u32_e32 v5, ttmp9, v1
	v_mov_b32_e32 v1, 0
	v_mov_b32_e32 v2, 0
	;; [unrolled: 1-line block ×3, first 2 shown]
	s_wait_kmcnt 0x0
	v_cmp_lt_u64_e64 s2, s[6:7], 2
	s_delay_alu instid0(VALU_DEP_1)
	s_and_b32 vcc_lo, exec_lo, s2
	s_cbranch_vccnz .LBB0_8
; %bb.1:
	s_load_b64 s[2:3], s[0:1], 0x10
	v_mov_b32_e32 v1, 0
	v_mov_b32_e32 v2, 0
	s_add_nc_u64 s[12:13], s[10:11], 8
	s_mov_b64 s[14:15], 1
	s_wait_kmcnt 0x0
	s_add_nc_u64 s[16:17], s[2:3], 8
	s_mov_b32 s3, 0
.LBB0_2:                                ; =>This Inner Loop Header: Depth=1
	s_load_b64 s[18:19], s[16:17], 0x0
                                        ; implicit-def: $vgpr7_vgpr8
	s_mov_b32 s2, exec_lo
	s_wait_kmcnt 0x0
	v_or_b32_e32 v4, s19, v6
	s_delay_alu instid0(VALU_DEP_1)
	v_cmpx_ne_u64_e32 0, v[3:4]
	s_wait_alu 0xfffe
	s_xor_b32 s20, exec_lo, s2
	s_cbranch_execz .LBB0_4
; %bb.3:                                ;   in Loop: Header=BB0_2 Depth=1
	s_cvt_f32_u32 s2, s18
	s_cvt_f32_u32 s21, s19
	s_sub_nc_u64 s[24:25], 0, s[18:19]
	s_wait_alu 0xfffe
	s_delay_alu instid0(SALU_CYCLE_1) | instskip(SKIP_1) | instid1(SALU_CYCLE_2)
	s_fmamk_f32 s2, s21, 0x4f800000, s2
	s_wait_alu 0xfffe
	v_s_rcp_f32 s2, s2
	s_delay_alu instid0(TRANS32_DEP_1) | instskip(SKIP_1) | instid1(SALU_CYCLE_2)
	s_mul_f32 s2, s2, 0x5f7ffffc
	s_wait_alu 0xfffe
	s_mul_f32 s21, s2, 0x2f800000
	s_wait_alu 0xfffe
	s_delay_alu instid0(SALU_CYCLE_2) | instskip(SKIP_1) | instid1(SALU_CYCLE_2)
	s_trunc_f32 s21, s21
	s_wait_alu 0xfffe
	s_fmamk_f32 s2, s21, 0xcf800000, s2
	s_cvt_u32_f32 s23, s21
	s_wait_alu 0xfffe
	s_delay_alu instid0(SALU_CYCLE_1) | instskip(SKIP_1) | instid1(SALU_CYCLE_2)
	s_cvt_u32_f32 s22, s2
	s_wait_alu 0xfffe
	s_mul_u64 s[26:27], s[24:25], s[22:23]
	s_wait_alu 0xfffe
	s_mul_hi_u32 s29, s22, s27
	s_mul_i32 s28, s22, s27
	s_mul_hi_u32 s2, s22, s26
	s_mul_i32 s30, s23, s26
	s_wait_alu 0xfffe
	s_add_nc_u64 s[28:29], s[2:3], s[28:29]
	s_mul_hi_u32 s21, s23, s26
	s_mul_hi_u32 s31, s23, s27
	s_add_co_u32 s2, s28, s30
	s_wait_alu 0xfffe
	s_add_co_ci_u32 s2, s29, s21
	s_mul_i32 s26, s23, s27
	s_add_co_ci_u32 s27, s31, 0
	s_wait_alu 0xfffe
	s_add_nc_u64 s[26:27], s[2:3], s[26:27]
	s_wait_alu 0xfffe
	v_add_co_u32 v4, s2, s22, s26
	s_delay_alu instid0(VALU_DEP_1) | instskip(SKIP_1) | instid1(VALU_DEP_1)
	s_cmp_lg_u32 s2, 0
	s_add_co_ci_u32 s23, s23, s27
	v_readfirstlane_b32 s22, v4
	s_wait_alu 0xfffe
	s_delay_alu instid0(VALU_DEP_1)
	s_mul_u64 s[24:25], s[24:25], s[22:23]
	s_wait_alu 0xfffe
	s_mul_hi_u32 s27, s22, s25
	s_mul_i32 s26, s22, s25
	s_mul_hi_u32 s2, s22, s24
	s_mul_i32 s28, s23, s24
	s_wait_alu 0xfffe
	s_add_nc_u64 s[26:27], s[2:3], s[26:27]
	s_mul_hi_u32 s21, s23, s24
	s_mul_hi_u32 s22, s23, s25
	s_wait_alu 0xfffe
	s_add_co_u32 s2, s26, s28
	s_add_co_ci_u32 s2, s27, s21
	s_mul_i32 s24, s23, s25
	s_add_co_ci_u32 s25, s22, 0
	s_wait_alu 0xfffe
	s_add_nc_u64 s[24:25], s[2:3], s[24:25]
	s_wait_alu 0xfffe
	v_add_co_u32 v4, s2, v4, s24
	s_delay_alu instid0(VALU_DEP_1) | instskip(SKIP_1) | instid1(VALU_DEP_1)
	s_cmp_lg_u32 s2, 0
	s_add_co_ci_u32 s2, s23, s25
	v_mul_hi_u32 v13, v5, v4
	s_wait_alu 0xfffe
	v_mad_co_u64_u32 v[7:8], null, v5, s2, 0
	v_mad_co_u64_u32 v[9:10], null, v6, v4, 0
	;; [unrolled: 1-line block ×3, first 2 shown]
	s_delay_alu instid0(VALU_DEP_3) | instskip(SKIP_1) | instid1(VALU_DEP_4)
	v_add_co_u32 v4, vcc_lo, v13, v7
	s_wait_alu 0xfffd
	v_add_co_ci_u32_e32 v7, vcc_lo, 0, v8, vcc_lo
	s_delay_alu instid0(VALU_DEP_2) | instskip(SKIP_1) | instid1(VALU_DEP_2)
	v_add_co_u32 v4, vcc_lo, v4, v9
	s_wait_alu 0xfffd
	v_add_co_ci_u32_e32 v4, vcc_lo, v7, v10, vcc_lo
	s_wait_alu 0xfffd
	v_add_co_ci_u32_e32 v7, vcc_lo, 0, v12, vcc_lo
	s_delay_alu instid0(VALU_DEP_2) | instskip(SKIP_1) | instid1(VALU_DEP_2)
	v_add_co_u32 v4, vcc_lo, v4, v11
	s_wait_alu 0xfffd
	v_add_co_ci_u32_e32 v9, vcc_lo, 0, v7, vcc_lo
	s_delay_alu instid0(VALU_DEP_2) | instskip(SKIP_1) | instid1(VALU_DEP_3)
	v_mul_lo_u32 v10, s19, v4
	v_mad_co_u64_u32 v[7:8], null, s18, v4, 0
	v_mul_lo_u32 v11, s18, v9
	s_delay_alu instid0(VALU_DEP_2) | instskip(NEXT) | instid1(VALU_DEP_2)
	v_sub_co_u32 v7, vcc_lo, v5, v7
	v_add3_u32 v8, v8, v11, v10
	s_delay_alu instid0(VALU_DEP_1) | instskip(SKIP_1) | instid1(VALU_DEP_1)
	v_sub_nc_u32_e32 v10, v6, v8
	s_wait_alu 0xfffd
	v_subrev_co_ci_u32_e64 v10, s2, s19, v10, vcc_lo
	v_add_co_u32 v11, s2, v4, 2
	s_wait_alu 0xf1ff
	v_add_co_ci_u32_e64 v12, s2, 0, v9, s2
	v_sub_co_u32 v13, s2, v7, s18
	v_sub_co_ci_u32_e32 v8, vcc_lo, v6, v8, vcc_lo
	s_wait_alu 0xf1ff
	v_subrev_co_ci_u32_e64 v10, s2, 0, v10, s2
	s_delay_alu instid0(VALU_DEP_3) | instskip(NEXT) | instid1(VALU_DEP_3)
	v_cmp_le_u32_e32 vcc_lo, s18, v13
	v_cmp_eq_u32_e64 s2, s19, v8
	s_wait_alu 0xfffd
	v_cndmask_b32_e64 v13, 0, -1, vcc_lo
	v_cmp_le_u32_e32 vcc_lo, s19, v10
	s_wait_alu 0xfffd
	v_cndmask_b32_e64 v14, 0, -1, vcc_lo
	v_cmp_le_u32_e32 vcc_lo, s18, v7
	;; [unrolled: 3-line block ×3, first 2 shown]
	s_wait_alu 0xfffd
	v_cndmask_b32_e64 v15, 0, -1, vcc_lo
	v_cmp_eq_u32_e32 vcc_lo, s19, v10
	s_wait_alu 0xf1ff
	s_delay_alu instid0(VALU_DEP_2)
	v_cndmask_b32_e64 v7, v15, v7, s2
	s_wait_alu 0xfffd
	v_cndmask_b32_e32 v10, v14, v13, vcc_lo
	v_add_co_u32 v13, vcc_lo, v4, 1
	s_wait_alu 0xfffd
	v_add_co_ci_u32_e32 v14, vcc_lo, 0, v9, vcc_lo
	s_delay_alu instid0(VALU_DEP_3) | instskip(SKIP_2) | instid1(VALU_DEP_3)
	v_cmp_ne_u32_e32 vcc_lo, 0, v10
	s_wait_alu 0xfffd
	v_cndmask_b32_e32 v10, v13, v11, vcc_lo
	v_cndmask_b32_e32 v8, v14, v12, vcc_lo
	v_cmp_ne_u32_e32 vcc_lo, 0, v7
	s_wait_alu 0xfffd
	s_delay_alu instid0(VALU_DEP_2)
	v_dual_cndmask_b32 v7, v4, v10 :: v_dual_cndmask_b32 v8, v9, v8
.LBB0_4:                                ;   in Loop: Header=BB0_2 Depth=1
	s_wait_alu 0xfffe
	s_and_not1_saveexec_b32 s2, s20
	s_cbranch_execz .LBB0_6
; %bb.5:                                ;   in Loop: Header=BB0_2 Depth=1
	v_cvt_f32_u32_e32 v4, s18
	s_sub_co_i32 s20, 0, s18
	s_delay_alu instid0(VALU_DEP_1) | instskip(NEXT) | instid1(TRANS32_DEP_1)
	v_rcp_iflag_f32_e32 v4, v4
	v_mul_f32_e32 v4, 0x4f7ffffe, v4
	s_delay_alu instid0(VALU_DEP_1) | instskip(SKIP_1) | instid1(VALU_DEP_1)
	v_cvt_u32_f32_e32 v4, v4
	s_wait_alu 0xfffe
	v_mul_lo_u32 v7, s20, v4
	s_delay_alu instid0(VALU_DEP_1) | instskip(NEXT) | instid1(VALU_DEP_1)
	v_mul_hi_u32 v7, v4, v7
	v_add_nc_u32_e32 v4, v4, v7
	s_delay_alu instid0(VALU_DEP_1) | instskip(NEXT) | instid1(VALU_DEP_1)
	v_mul_hi_u32 v4, v5, v4
	v_mul_lo_u32 v7, v4, s18
	v_add_nc_u32_e32 v8, 1, v4
	s_delay_alu instid0(VALU_DEP_2) | instskip(NEXT) | instid1(VALU_DEP_1)
	v_sub_nc_u32_e32 v7, v5, v7
	v_subrev_nc_u32_e32 v9, s18, v7
	v_cmp_le_u32_e32 vcc_lo, s18, v7
	s_wait_alu 0xfffd
	s_delay_alu instid0(VALU_DEP_2) | instskip(NEXT) | instid1(VALU_DEP_1)
	v_dual_cndmask_b32 v7, v7, v9 :: v_dual_cndmask_b32 v4, v4, v8
	v_cmp_le_u32_e32 vcc_lo, s18, v7
	s_delay_alu instid0(VALU_DEP_2) | instskip(SKIP_1) | instid1(VALU_DEP_1)
	v_add_nc_u32_e32 v8, 1, v4
	s_wait_alu 0xfffd
	v_dual_cndmask_b32 v7, v4, v8 :: v_dual_mov_b32 v8, v3
.LBB0_6:                                ;   in Loop: Header=BB0_2 Depth=1
	s_wait_alu 0xfffe
	s_or_b32 exec_lo, exec_lo, s2
	s_load_b64 s[20:21], s[12:13], 0x0
	s_delay_alu instid0(VALU_DEP_1)
	v_mul_lo_u32 v4, v8, s18
	v_mul_lo_u32 v11, v7, s19
	v_mad_co_u64_u32 v[9:10], null, v7, s18, 0
	s_add_nc_u64 s[14:15], s[14:15], 1
	s_add_nc_u64 s[12:13], s[12:13], 8
	s_wait_alu 0xfffe
	v_cmp_ge_u64_e64 s2, s[14:15], s[6:7]
	s_add_nc_u64 s[16:17], s[16:17], 8
	s_delay_alu instid0(VALU_DEP_2) | instskip(NEXT) | instid1(VALU_DEP_3)
	v_add3_u32 v4, v10, v11, v4
	v_sub_co_u32 v5, vcc_lo, v5, v9
	s_wait_alu 0xfffd
	s_delay_alu instid0(VALU_DEP_2) | instskip(SKIP_3) | instid1(VALU_DEP_2)
	v_sub_co_ci_u32_e32 v4, vcc_lo, v6, v4, vcc_lo
	s_and_b32 vcc_lo, exec_lo, s2
	s_wait_kmcnt 0x0
	v_mul_lo_u32 v6, s21, v5
	v_mul_lo_u32 v4, s20, v4
	v_mad_co_u64_u32 v[1:2], null, s20, v5, v[1:2]
	s_delay_alu instid0(VALU_DEP_1)
	v_add3_u32 v2, v6, v2, v4
	s_wait_alu 0xfffe
	s_cbranch_vccnz .LBB0_9
; %bb.7:                                ;   in Loop: Header=BB0_2 Depth=1
	v_dual_mov_b32 v5, v7 :: v_dual_mov_b32 v6, v8
	s_branch .LBB0_2
.LBB0_8:
	v_dual_mov_b32 v8, v6 :: v_dual_mov_b32 v7, v5
.LBB0_9:
	s_lshl_b64 s[2:3], s[6:7], 3
	v_mul_hi_u32 v5, 0x20c49bb, v0
	s_wait_alu 0xfffe
	s_add_nc_u64 s[2:3], s[10:11], s[2:3]
                                        ; implicit-def: $vgpr27
                                        ; implicit-def: $vgpr24
                                        ; implicit-def: $vgpr28
                                        ; implicit-def: $vgpr12
                                        ; implicit-def: $vgpr23
                                        ; implicit-def: $vgpr31
                                        ; implicit-def: $vgpr26
                                        ; implicit-def: $vgpr32
                                        ; implicit-def: $vgpr25
                                        ; implicit-def: $vgpr22
                                        ; implicit-def: $vgpr36
                                        ; implicit-def: $vgpr30
                                        ; implicit-def: $vgpr38
                                        ; implicit-def: $vgpr29
                                        ; implicit-def: $vgpr20
                                        ; implicit-def: $vgpr41
                                        ; implicit-def: $vgpr34
                                        ; implicit-def: $vgpr42
                                        ; implicit-def: $vgpr33
                                        ; implicit-def: $vgpr19
                                        ; implicit-def: $vgpr45
                                        ; implicit-def: $vgpr37
                                        ; implicit-def: $vgpr48
                                        ; implicit-def: $vgpr35
                                        ; implicit-def: $vgpr18
                                        ; implicit-def: $vgpr51
                                        ; implicit-def: $vgpr40
                                        ; implicit-def: $vgpr52
                                        ; implicit-def: $vgpr39
                                        ; implicit-def: $vgpr10
                                        ; implicit-def: $vgpr17
                                        ; implicit-def: $vgpr55
                                        ; implicit-def: $vgpr44
                                        ; implicit-def: $vgpr56
                                        ; implicit-def: $vgpr43
                                        ; implicit-def: $vgpr11
                                        ; implicit-def: $vgpr16
                                        ; implicit-def: $vgpr57
                                        ; implicit-def: $vgpr47
                                        ; implicit-def: $vgpr58
                                        ; implicit-def: $vgpr46
                                        ; implicit-def: $vgpr13
                                        ; implicit-def: $vgpr15
                                        ; implicit-def: $vgpr59
                                        ; implicit-def: $vgpr50
                                        ; implicit-def: $vgpr60
                                        ; implicit-def: $vgpr49
                                        ; implicit-def: $vgpr14
                                        ; implicit-def: $vgpr9
                                        ; implicit-def: $vgpr61
                                        ; implicit-def: $vgpr54
                                        ; implicit-def: $vgpr62
                                        ; implicit-def: $vgpr53
                                        ; implicit-def: $vgpr21
	s_load_b64 s[2:3], s[2:3], 0x0
	s_load_b64 s[0:1], s[0:1], 0x20
	s_wait_kmcnt 0x0
	v_mul_lo_u32 v3, s2, v8
	v_mul_lo_u32 v4, s3, v7
	v_mad_co_u64_u32 v[1:2], null, s2, v7, v[1:2]
	v_cmp_gt_u64_e32 vcc_lo, s[0:1], v[7:8]
                                        ; implicit-def: $vgpr8
                                        ; implicit-def: $vgpr7
	s_delay_alu instid0(VALU_DEP_2) | instskip(SKIP_1) | instid1(VALU_DEP_2)
	v_add3_u32 v2, v4, v2, v3
	v_mul_u32_u24_e32 v3, 0x7d, v5
	v_lshlrev_b64_e32 v[4:5], 2, v[1:2]
	s_delay_alu instid0(VALU_DEP_2)
	v_sub_nc_u32_e32 v6, v0, v3
                                        ; implicit-def: $vgpr0
                                        ; implicit-def: $vgpr1
                                        ; implicit-def: $vgpr2
                                        ; implicit-def: $vgpr3
	s_and_saveexec_b32 s1, vcc_lo
	s_cbranch_execz .LBB0_11
; %bb.10:
	v_mov_b32_e32 v7, 0
	s_delay_alu instid0(VALU_DEP_3) | instskip(SKIP_2) | instid1(VALU_DEP_3)
	v_add_co_u32 v2, s0, s8, v4
	s_wait_alu 0xf1ff
	v_add_co_ci_u32_e64 v3, s0, s9, v5, s0
	v_lshlrev_b64_e32 v[0:1], 2, v[6:7]
	s_delay_alu instid0(VALU_DEP_1) | instskip(SKIP_1) | instid1(VALU_DEP_2)
	v_add_co_u32 v0, s0, v2, v0
	s_wait_alu 0xf1ff
	v_add_co_ci_u32_e64 v1, s0, v3, v1, s0
	s_clause 0x1d
	global_load_b32 v7, v[0:1], off
	global_load_b32 v53, v[0:1], off offset:5000
	global_load_b32 v54, v[0:1], off offset:10000
	;; [unrolled: 1-line block ×29, first 2 shown]
	s_wait_loadcnt 0x1d
	v_lshrrev_b32_e32 v21, 16, v7
	s_wait_loadcnt 0x1c
	v_lshrrev_b32_e32 v62, 16, v53
	;; [unrolled: 2-line block ×30, first 2 shown]
.LBB0_11:
	s_wait_alu 0xfffe
	s_or_b32 exec_lo, exec_lo, s1
	v_add_f16_e32 v66, v61, v62
	v_add_f16_e32 v63, v54, v53
	;; [unrolled: 1-line block ×3, first 2 shown]
	v_sub_f16_e32 v65, v62, v61
	v_add_f16_e32 v62, v62, v21
	v_sub_f16_e32 v53, v53, v54
	v_fmac_f16_e32 v21, -0.5, v66
	v_fmac_f16_e32 v7, -0.5, v63
	v_add_f16_e32 v54, v54, v64
	v_add_f16_e32 v61, v61, v62
	;; [unrolled: 1-line block ×3, first 2 shown]
	v_fmamk_f16 v64, v53, 0xbaee, v21
	v_fmac_f16_e32 v21, 0x3aee, v53
	v_add_f16_e32 v53, v59, v60
	v_fmamk_f16 v63, v65, 0x3aee, v7
	v_fmac_f16_e32 v7, 0xbaee, v65
	v_add_f16_e32 v65, v49, v9
	v_fmac_f16_e32 v9, -0.5, v62
	v_sub_f16_e32 v62, v60, v59
	v_add_f16_e32 v60, v60, v14
	v_fmac_f16_e32 v14, -0.5, v53
	v_sub_f16_e32 v49, v49, v50
	v_add_f16_e32 v65, v50, v65
	v_fmamk_f16 v50, v62, 0x3aee, v9
	v_add_f16_e32 v53, v59, v60
	v_add_f16_e32 v59, v47, v46
	v_fmamk_f16 v60, v49, 0xbaee, v14
	v_fmac_f16_e32 v14, 0x3aee, v49
	v_add_f16_e32 v49, v57, v58
	v_fmac_f16_e32 v9, 0xbaee, v62
	v_add_f16_e32 v62, v46, v15
	v_fmac_f16_e32 v15, -0.5, v59
	v_sub_f16_e32 v59, v58, v57
	v_add_f16_e32 v58, v58, v13
	v_fmac_f16_e32 v13, -0.5, v49
	v_sub_f16_e32 v46, v46, v47
	v_add_f16_e32 v62, v47, v62
	v_fmamk_f16 v47, v59, 0x3aee, v15
	v_add_f16_e32 v49, v57, v58
	v_add_f16_e32 v57, v44, v43
	v_fmamk_f16 v58, v46, 0xbaee, v13
	v_fmac_f16_e32 v13, 0x3aee, v46
	v_add_f16_e32 v46, v55, v56
	;; [unrolled: 14-line block ×8, first 2 shown]
	v_fmac_f16_e32 v22, 0xbaee, v36
	v_add_f16_e32 v36, v12, v23
	v_fmac_f16_e32 v23, -0.5, v31
	v_sub_f16_e32 v31, v28, v27
	v_add_f16_e32 v28, v28, v0
	v_fmac_f16_e32 v0, -0.5, v25
	v_mad_u32_u24 v25, v6, 6, 0
	v_add_f16_e32 v36, v24, v36
	v_sub_f16_e32 v12, v12, v24
	v_fmamk_f16 v24, v31, 0x3aee, v23
	v_fmac_f16_e32 v23, 0xbaee, v31
	ds_store_b16 v25, v54
	ds_store_b16 v25, v63 offset:2
	ds_store_b16 v25, v7 offset:4
	;; [unrolled: 1-line block ×29, first 2 shown]
	v_and_b32_e32 v7, 0xff, v6
	v_lshl_add_u32 v9, v6, 1, 0
	global_wb scope:SCOPE_SE
	s_wait_dscnt 0x0
	s_barrier_signal -1
	s_barrier_wait -1
	v_mul_lo_u16 v22, 0xab, v7
	global_inv scope:SCOPE_SE
	ds_load_u16 v47, v9 offset:1750
	ds_load_u16 v50, v9 offset:3250
	;; [unrolled: 1-line block ×4, first 2 shown]
	ds_load_u16 v20, v9
	ds_load_u16 v19, v9 offset:250
	ds_load_u16 v18, v9 offset:500
	ds_load_u16 v16, v9 offset:750
	ds_load_u16 v15, v9 offset:1000
	ds_load_u16 v55, v9 offset:2000
	ds_load_u16 v57, v9 offset:2250
	ds_load_u16 v59, v9 offset:2500
	ds_load_u16 v63, v9 offset:4000
	ds_load_u16 v62, v9 offset:1500
	ds_load_u16 v17, v9 offset:1250
	ds_load_u16 v65, v9 offset:3000
	ds_load_u16 v66, v9 offset:2750
	ds_load_u16 v67, v9 offset:4750
	ds_load_u16 v68, v9 offset:5000
	ds_load_u16 v69, v9 offset:5250
	ds_load_u16 v70, v9 offset:5500
	ds_load_u16 v71, v9 offset:5750
	ds_load_u16 v72, v9 offset:4500
	ds_load_u16 v74, v9 offset:4250
	ds_load_u16 v73, v9 offset:6000
	ds_load_u16 v75, v9 offset:6250
	ds_load_u16 v76, v9 offset:6500
	ds_load_u16 v77, v9 offset:6750
	ds_load_u16 v78, v9 offset:7000
	ds_load_u16 v79, v9 offset:7250
	global_wb scope:SCOPE_SE
	s_wait_dscnt 0x0
	v_lshrrev_b16 v22, 9, v22
	s_barrier_signal -1
	s_barrier_wait -1
	global_inv scope:SCOPE_SE
	ds_store_b16 v25, v61
	ds_store_b16 v25, v64 offset:2
	ds_store_b16 v25, v21 offset:4
	;; [unrolled: 1-line block ×7, first 2 shown]
	v_mul_lo_u16 v14, v22, 3
	ds_store_b16 v25, v13 offset:1504
	ds_store_b16 v25, v46 offset:2250
	;; [unrolled: 1-line block ×8, first 2 shown]
	v_add_f16_e32 v27, v27, v28
	v_fmamk_f16 v28, v12, 0xbaee, v0
	v_fmac_f16_e32 v0, 0x3aee, v12
	v_sub_nc_u16 v10, v6, v14
	v_add_nc_u32_e32 v12, 0x7d, v6
	ds_store_b16 v25, v48 offset:3752
	ds_store_b16 v25, v8 offset:3754
	ds_store_b16 v25, v35 offset:4500
	ds_store_b16 v25, v42 offset:4502
	ds_store_b16 v25, v3 offset:4504
	ds_store_b16 v25, v33 offset:5250
	ds_store_b16 v25, v38 offset:5252
	ds_store_b16 v25, v2 offset:5254
	ds_store_b16 v25, v29 offset:6000
	ds_store_b16 v25, v32 offset:6002
	ds_store_b16 v25, v1 offset:6004
	ds_store_b16 v25, v27 offset:6750
	ds_store_b16 v25, v28 offset:6752
	ds_store_b16 v25, v0 offset:6754
	global_wb scope:SCOPE_SE
	s_wait_dscnt 0x0
	v_and_b32_e32 v23, 0xff, v10
	v_and_b32_e32 v1, 0xff, v12
	s_barrier_signal -1
	s_barrier_wait -1
	global_inv scope:SCOPE_SE
	v_lshlrev_b32_e32 v0, 4, v23
	v_add_nc_u32_e32 v13, 0xfa, v6
	v_add_nc_u32_e32 v14, 0x177, v6
	;; [unrolled: 1-line block ×3, first 2 shown]
	v_and_b32_e32 v22, 0xffff, v22
	global_load_b128 v[31:34], v0, s[4:5]
	v_mul_lo_u16 v0, 0xab, v1
	v_lshlrev_b32_e32 v23, 1, v23
	v_mul_lo_u16 v7, 0x89, v7
	v_mul_u32_u24_e32 v22, 30, v22
	v_cmp_gt_u32_e64 s0, 0x4b, v6
	v_lshrrev_b16 v25, 9, v0
	s_delay_alu instid0(VALU_DEP_4) | instskip(NEXT) | instid1(VALU_DEP_4)
	v_lshrrev_b16 v7, 11, v7
	v_add3_u32 v22, 0, v22, v23
	s_delay_alu instid0(VALU_DEP_3) | instskip(SKIP_1) | instid1(VALU_DEP_2)
	v_mul_lo_u16 v0, v25, 3
	v_and_b32_e32 v25, 0xffff, v25
	v_sub_nc_u16 v0, v12, v0
	s_delay_alu instid0(VALU_DEP_2) | instskip(NEXT) | instid1(VALU_DEP_2)
	v_mul_u32_u24_e32 v25, 30, v25
	v_and_b32_e32 v24, 0xff, v0
	v_and_b32_e32 v0, 0xffff, v13
	s_delay_alu instid0(VALU_DEP_2) | instskip(NEXT) | instid1(VALU_DEP_2)
	v_lshlrev_b32_e32 v2, 4, v24
	v_mul_u32_u24_e32 v3, 0xaaab, v0
	v_lshlrev_b32_e32 v24, 1, v24
	global_load_b128 v[35:38], v2, s[4:5]
	v_lshrrev_b32_e32 v26, 17, v3
	v_and_b32_e32 v3, 0xffff, v14
	v_add3_u32 v23, 0, v25, v24
	s_delay_alu instid0(VALU_DEP_3) | instskip(SKIP_1) | instid1(VALU_DEP_2)
	v_mul_lo_u16 v2, v26, 3
	v_mul_u32_u24_e32 v24, 30, v26
	v_sub_nc_u16 v2, v13, v2
	s_delay_alu instid0(VALU_DEP_1) | instskip(SKIP_2) | instid1(VALU_DEP_3)
	v_and_b32_e32 v29, 0xffff, v2
	v_mul_u32_u24_e32 v2, 0xaaab, v3
	v_mul_u32_u24_e32 v3, 0x8889, v3
	v_lshlrev_b32_e32 v8, 4, v29
	s_delay_alu instid0(VALU_DEP_3) | instskip(SKIP_1) | instid1(VALU_DEP_4)
	v_lshrrev_b32_e32 v27, 17, v2
	v_lshlrev_b32_e32 v25, 1, v29
	v_lshrrev_b32_e32 v3, 19, v3
	global_load_b128 v[39:42], v8, s[4:5]
	v_mul_lo_u16 v2, v27, 3
	v_add3_u32 v24, 0, v24, v25
	s_delay_alu instid0(VALU_DEP_2) | instskip(NEXT) | instid1(VALU_DEP_1)
	v_sub_nc_u16 v2, v14, v2
	v_and_b32_e32 v28, 0xffff, v2
	s_delay_alu instid0(VALU_DEP_1)
	v_lshlrev_b32_e32 v2, 4, v28
	v_lshlrev_b32_e32 v25, 1, v28
	global_load_b128 v[43:46], v2, s[4:5]
	ds_load_u16 v8, v9 offset:1500
	ds_load_u16 v48, v9 offset:1750
	;; [unrolled: 1-line block ×16, first 2 shown]
	v_and_b32_e32 v2, 0xffff, v10
	ds_load_u16 v88, v9 offset:6250
	ds_load_u16 v89, v9 offset:6500
	;; [unrolled: 1-line block ×5, first 2 shown]
	v_mul_u32_u24_e32 v11, 0xaaab, v2
	v_mul_u32_u24_e32 v2, 0x8889, v2
	s_delay_alu instid0(VALU_DEP_2) | instskip(NEXT) | instid1(VALU_DEP_2)
	v_lshrrev_b32_e32 v30, 17, v11
	v_lshrrev_b32_e32 v2, 19, v2
	s_wait_loadcnt 0x3
	v_lshrrev_b32_e32 v60, 16, v31
	v_lshrrev_b32_e32 v86, 16, v32
	s_wait_dscnt 0x14
	s_delay_alu instid0(VALU_DEP_2)
	v_mul_f16_e32 v87, v8, v60
	v_mul_f16_e32 v60, v62, v60
	s_wait_dscnt 0xe
	v_mul_f16_e32 v11, v56, v86
	v_mul_f16_e32 v86, v65, v86
	v_fma_f16 v87, v62, v31, -v87
	v_lshrrev_b32_e32 v62, 16, v33
	v_fmac_f16_e32 v60, v8, v31
	v_lshrrev_b32_e32 v8, 16, v34
	v_fma_f16 v65, v65, v32, -v11
	v_fmac_f16_e32 v86, v56, v32
	s_wait_dscnt 0xc
	v_mul_f16_e32 v11, v61, v62
	v_mul_f16_e32 v93, v72, v62
	s_wait_dscnt 0x5
	v_mul_f16_e32 v31, v85, v8
	v_mul_f16_e32 v94, v73, v8
	ds_load_u16 v32, v9 offset:2000
	ds_load_u16 v56, v9 offset:2250
	ds_load_u16 v62, v9 offset:2500
	v_fma_f16 v95, v72, v33, -v11
	v_fmac_f16_e32 v93, v61, v33
	v_fma_f16 v96, v73, v34, -v31
	v_fmac_f16_e32 v94, v85, v34
	v_mul_lo_u16 v33, v30, 3
	s_delay_alu instid0(VALU_DEP_1) | instskip(SKIP_4) | instid1(VALU_DEP_3)
	v_sub_nc_u16 v33, v10, v33
	s_wait_loadcnt 0x2
	v_lshrrev_b32_e32 v8, 16, v35
	v_lshrrev_b32_e32 v31, 16, v36
	;; [unrolled: 1-line block ×3, first 2 shown]
	v_mul_f16_e32 v11, v48, v8
	v_mul_f16_e32 v85, v47, v8
	s_delay_alu instid0(VALU_DEP_4)
	v_mul_f16_e32 v8, v49, v31
	v_mul_f16_e32 v97, v50, v31
	;; [unrolled: 1-line block ×3, first 2 shown]
	v_fma_f16 v47, v47, v35, -v11
	v_add_nc_u32_e32 v11, 0x271, v6
	v_fma_f16 v98, v50, v36, -v8
	v_lshrrev_b32_e32 v8, 16, v38
	v_fmac_f16_e32 v97, v49, v36
	v_mul_f16_e32 v49, v67, v34
	v_fma_f16 v67, v67, v37, -v31
	v_and_b32_e32 v31, 0xffff, v33
	v_fmac_f16_e32 v85, v48, v35
	s_wait_dscnt 0x7
	v_mul_f16_e32 v34, v88, v8
	v_mul_f16_e32 v99, v75, v8
	v_and_b32_e32 v8, 0xffff, v11
	v_fmac_f16_e32 v49, v64, v37
	s_delay_alu instid0(VALU_DEP_4) | instskip(NEXT) | instid1(VALU_DEP_4)
	v_fma_f16 v75, v75, v38, -v34
	v_fmac_f16_e32 v99, v88, v38
	s_wait_loadcnt 0x1
	v_lshrrev_b32_e32 v33, 16, v39
	v_lshrrev_b32_e32 v36, 16, v40
	;; [unrolled: 1-line block ×3, first 2 shown]
	v_lshlrev_b32_e32 v34, 4, v31
	s_wait_dscnt 0x2
	v_mul_f16_e32 v35, v32, v33
	v_mul_f16_e32 v88, v55, v33
	v_lshrrev_b32_e32 v33, 16, v42
	v_mul_f16_e32 v101, v51, v36
	v_mul_f16_e32 v102, v68, v37
	v_fma_f16 v100, v55, v39, -v35
	v_mul_f16_e32 v35, v52, v36
	v_mul_u32_u24_e32 v36, 0xaaab, v8
	v_fmac_f16_e32 v88, v32, v39
	v_mul_f16_e32 v32, v80, v37
	v_mul_f16_e32 v104, v76, v33
	v_fma_f16 v103, v51, v40, -v35
	v_mul_f16_e32 v35, v89, v33
	v_lshrrev_b32_e32 v36, 17, v36
	v_fma_f16 v105, v68, v41, -v32
	v_fmac_f16_e32 v102, v80, v41
	s_wait_loadcnt 0x0
	v_lshrrev_b32_e32 v37, 16, v43
	v_fma_f16 v76, v76, v42, -v35
	global_load_b128 v[32:35], v34, s[4:5]
	v_lshrrev_b32_e32 v39, 16, v44
	v_fmac_f16_e32 v101, v52, v40
	s_wait_dscnt 0x1
	v_mul_f16_e32 v38, v56, v37
	v_mul_f16_e32 v80, v57, v37
	v_mul_lo_u16 v37, v36, 3
	v_fmac_f16_e32 v104, v89, v42
	v_lshrrev_b32_e32 v40, 16, v45
	v_fma_f16 v89, v57, v43, -v38
	v_mul_f16_e32 v38, v53, v39
	v_sub_nc_u16 v37, v11, v37
	v_mul_f16_e32 v106, v54, v39
	v_mul_f16_e32 v39, v81, v40
	;; [unrolled: 1-line block ×3, first 2 shown]
	v_fma_f16 v107, v54, v44, -v38
	v_lshrrev_b32_e32 v38, 16, v46
	v_and_b32_e32 v37, 0xffff, v37
	v_fma_f16 v108, v69, v45, -v39
	ds_load_u16 v42, v9 offset:4000
	v_fmac_f16_e32 v80, v56, v43
	v_mul_f16_e32 v39, v90, v38
	v_mul_f16_e32 v110, v77, v38
	v_lshlrev_b32_e32 v38, 4, v37
	v_fmac_f16_e32 v106, v53, v44
	v_fmac_f16_e32 v109, v81, v45
	v_fma_f16 v77, v77, v46, -v39
	v_fmac_f16_e32 v110, v90, v46
	global_load_b128 v[38:41], v38, s[4:5]
	v_sub_f16_e32 v46, v65, v95
	v_add_f16_e32 v69, v47, v75
	v_mul_u32_u24_e32 v8, 0x8889, v8
	v_sub_f16_e32 v90, v110, v109
	s_wait_loadcnt 0x1
	v_lshrrev_b32_e32 v43, 16, v32
	s_wait_dscnt 0x1
	s_delay_alu instid0(VALU_DEP_1) | instskip(SKIP_2) | instid1(VALU_DEP_3)
	v_mul_f16_e32 v44, v62, v43
	v_mul_f16_e32 v61, v59, v43
	v_lshrrev_b32_e32 v43, 16, v33
	v_fma_f16 v72, v59, v32, -v44
	s_delay_alu instid0(VALU_DEP_3) | instskip(SKIP_1) | instid1(VALU_DEP_3)
	v_fmac_f16_e32 v61, v62, v32
	s_wait_dscnt 0x0
	v_mul_f16_e32 v32, v42, v43
	v_mul_f16_e32 v62, v63, v43
	v_lshrrev_b32_e32 v43, 16, v34
	v_sub_f16_e32 v59, v60, v86
	s_delay_alu instid0(VALU_DEP_4) | instskip(NEXT) | instid1(VALU_DEP_4)
	v_fma_f16 v68, v63, v33, -v32
	v_fmac_f16_e32 v62, v42, v33
	s_delay_alu instid0(VALU_DEP_4) | instskip(SKIP_3) | instid1(VALU_DEP_4)
	v_mul_f16_e32 v32, v82, v43
	v_lshrrev_b32_e32 v33, 16, v35
	v_mul_f16_e32 v63, v70, v43
	v_sub_f16_e32 v43, v87, v96
	v_fma_f16 v70, v70, v34, -v32
	s_delay_alu instid0(VALU_DEP_4)
	v_mul_f16_e32 v32, v91, v33
	v_mul_f16_e32 v64, v78, v33
	s_wait_loadcnt 0x0
	v_lshrrev_b32_e32 v33, 16, v38
	v_fmac_f16_e32 v63, v82, v34
	v_lshrrev_b32_e32 v34, 16, v40
	v_fma_f16 v73, v78, v35, -v32
	v_fmac_f16_e32 v64, v91, v35
	v_lshrrev_b32_e32 v32, 16, v39
	v_mul_f16_e32 v35, v58, v33
	v_mul_f16_e32 v48, v66, v33
	v_lshrrev_b32_e32 v42, 16, v41
	v_mul_f16_e32 v53, v71, v34
	v_mul_f16_e32 v33, v84, v32
	;; [unrolled: 1-line block ×3, first 2 shown]
	v_fma_f16 v55, v66, v38, -v35
	v_mul_f16_e32 v32, v83, v34
	v_fmac_f16_e32 v48, v58, v38
	ds_load_u16 v38, v9
	v_fma_f16 v52, v74, v39, -v33
	v_add_f16_e32 v33, v65, v95
	v_fma_f16 v56, v71, v40, -v32
	v_mul_f16_e32 v32, v92, v42
	v_add_f16_e32 v35, v87, v96
	v_fmac_f16_e32 v53, v83, v40
	v_fma_f16 v44, -0.5, v33, v20
	v_add_f16_e32 v40, v20, v87
	v_fma_f16 v58, v79, v41, -v32
	v_sub_f16_e32 v32, v86, v93
	v_sub_f16_e32 v33, v87, v65
	;; [unrolled: 1-line block ×3, first 2 shown]
	v_fmac_f16_e32 v20, -0.5, v35
	v_fmac_f16_e32 v50, v84, v39
	v_mul_f16_e32 v54, v79, v42
	v_sub_f16_e32 v39, v60, v94
	v_add_f16_e32 v33, v33, v34
	v_sub_f16_e32 v34, v65, v87
	v_sub_f16_e32 v35, v95, v96
	v_fmamk_f16 v51, v32, 0xbb9c, v20
	v_fmac_f16_e32 v20, 0x3b9c, v32
	v_fmac_f16_e32 v54, v92, v41
	v_fmamk_f16 v45, v39, 0x3b9c, v44
	v_fmac_f16_e32 v44, 0xbb9c, v39
	v_add_f16_e32 v41, v34, v35
	v_add_f16_e32 v40, v40, v65
	v_fmac_f16_e32 v51, 0x38b4, v39
	v_fmac_f16_e32 v20, 0xb8b4, v39
	s_wait_dscnt 0x0
	v_add_f16_e32 v39, v38, v60
	v_add_f16_e32 v42, v60, v94
	v_add_f16_e32 v40, v40, v95
	v_fmac_f16_e32 v51, 0x34f2, v41
	v_fmac_f16_e32 v20, 0x34f2, v41
	v_add_f16_e32 v39, v39, v86
	v_add_f16_e32 v41, v86, v93
	v_add_f16_e32 v57, v40, v96
	v_sub_f16_e32 v65, v94, v93
	v_sub_f16_e32 v60, v86, v60
	v_add_f16_e32 v40, v39, v93
	v_fma_f16 v39, -0.5, v41, v38
	v_fmac_f16_e32 v38, -0.5, v42
	v_sub_f16_e32 v66, v93, v94
	v_add_f16_e32 v59, v59, v65
	v_fmac_f16_e32 v45, 0x38b4, v32
	v_fmamk_f16 v41, v43, 0xbb9c, v39
	v_fmac_f16_e32 v39, 0x3b9c, v43
	v_fmamk_f16 v42, v46, 0x3b9c, v38
	v_fmac_f16_e32 v38, 0xbb9c, v46
	v_fmac_f16_e32 v44, 0xb8b4, v32
	;; [unrolled: 1-line block ×4, first 2 shown]
	v_add_f16_e32 v46, v98, v67
	v_fmac_f16_e32 v42, 0xb8b4, v43
	v_add_f16_e32 v60, v60, v66
	v_fmac_f16_e32 v41, 0x34f2, v59
	v_fmac_f16_e32 v39, 0x34f2, v59
	;; [unrolled: 1-line block ×3, first 2 shown]
	v_fma_f16 v59, -0.5, v46, v19
	v_sub_f16_e32 v43, v47, v98
	v_sub_f16_e32 v46, v75, v67
	;; [unrolled: 1-line block ×3, first 2 shown]
	v_fmac_f16_e32 v45, 0x34f2, v33
	v_fmac_f16_e32 v44, 0x34f2, v33
	ds_load_u16 v35, v9 offset:250
	ds_load_u16 v34, v9 offset:500
	;; [unrolled: 1-line block ×4, first 2 shown]
	v_add_f16_e32 v43, v43, v46
	v_fmamk_f16 v65, v66, 0x3b9c, v59
	v_sub_f16_e32 v46, v97, v49
	v_fmac_f16_e32 v59, 0xbb9c, v66
	v_fmac_f16_e32 v42, 0x34f2, v60
	;; [unrolled: 1-line block ×3, first 2 shown]
	v_add_f16_e32 v60, v19, v47
	v_fmac_f16_e32 v19, -0.5, v69
	v_fmac_f16_e32 v65, 0x38b4, v46
	v_fmac_f16_e32 v59, 0xb8b4, v46
	v_sub_f16_e32 v78, v49, v99
	v_sub_f16_e32 v71, v97, v85
	v_fmamk_f16 v69, v46, 0xbb9c, v19
	v_fmac_f16_e32 v65, 0x34f2, v43
	v_fmac_f16_e32 v59, 0x34f2, v43
	;; [unrolled: 1-line block ×3, first 2 shown]
	v_sub_f16_e32 v43, v98, v47
	v_sub_f16_e32 v46, v67, v75
	v_fmac_f16_e32 v69, 0x38b4, v66
	v_add_f16_e32 v71, v71, v78
	v_fmac_f16_e32 v19, 0xb8b4, v66
	v_add_f16_e32 v66, v85, v99
	v_add_f16_e32 v43, v43, v46
	v_add_f16_e32 v46, v60, v98
	s_wait_dscnt 0x3
	v_add_f16_e32 v60, v35, v85
	v_add_f16_e32 v78, v100, v76
	v_sub_f16_e32 v82, v103, v105
	v_fmac_f16_e32 v69, 0x34f2, v43
	v_add_f16_e32 v46, v46, v67
	v_fmac_f16_e32 v19, 0x34f2, v43
	v_add_f16_e32 v43, v60, v97
	v_add_f16_e32 v60, v97, v49
	v_sub_f16_e32 v67, v98, v67
	v_add_f16_e32 v74, v46, v75
	v_sub_f16_e32 v83, v88, v101
	v_add_f16_e32 v46, v43, v49
	v_fma_f16 v43, -0.5, v60, v35
	v_sub_f16_e32 v60, v47, v75
	v_fmac_f16_e32 v35, -0.5, v66
	v_sub_f16_e32 v66, v85, v97
	v_sub_f16_e32 v75, v99, v49
	;; [unrolled: 1-line block ×3, first 2 shown]
	v_fmamk_f16 v47, v60, 0xbb9c, v43
	v_fmac_f16_e32 v43, 0x3b9c, v60
	v_fmamk_f16 v49, v67, 0x3b9c, v35
	v_add_f16_e32 v66, v66, v75
	v_fmac_f16_e32 v35, 0xbb9c, v67
	v_fmac_f16_e32 v47, 0xb8b4, v67
	;; [unrolled: 1-line block ×3, first 2 shown]
	v_add_f16_e32 v67, v103, v105
	v_fmac_f16_e32 v49, 0xb8b4, v60
	v_fmac_f16_e32 v35, 0x38b4, v60
	;; [unrolled: 1-line block ×4, first 2 shown]
	v_fma_f16 v75, -0.5, v67, v18
	v_sub_f16_e32 v60, v100, v103
	v_sub_f16_e32 v66, v76, v105
	;; [unrolled: 1-line block ×3, first 2 shown]
	v_fmac_f16_e32 v49, 0x34f2, v71
	v_fmac_f16_e32 v35, 0x34f2, v71
	v_add_f16_e32 v71, v18, v100
	v_add_f16_e32 v60, v60, v66
	v_fmamk_f16 v79, v67, 0x3b9c, v75
	v_sub_f16_e32 v66, v101, v102
	v_fmac_f16_e32 v75, 0xbb9c, v67
	v_fmac_f16_e32 v18, -0.5, v78
	v_sub_f16_e32 v84, v101, v88
	v_sub_f16_e32 v86, v102, v104
	v_fmac_f16_e32 v79, 0x38b4, v66
	v_fmac_f16_e32 v75, 0xb8b4, v66
	v_fmamk_f16 v78, v66, 0xbb9c, v18
	v_fmac_f16_e32 v18, 0x3b9c, v66
	v_sub_f16_e32 v66, v105, v76
	v_fmac_f16_e32 v79, 0x34f2, v60
	v_fmac_f16_e32 v75, 0x34f2, v60
	v_sub_f16_e32 v60, v103, v100
	v_fmac_f16_e32 v78, 0x38b4, v67
	v_fmac_f16_e32 v18, 0xb8b4, v67
	s_wait_dscnt 0x2
	v_add_f16_e32 v67, v34, v88
	v_add_f16_e32 v83, v83, v85
	;; [unrolled: 1-line block ×6, first 2 shown]
	v_sub_f16_e32 v85, v80, v110
	v_fmac_f16_e32 v78, 0x34f2, v60
	v_add_f16_e32 v66, v66, v105
	v_fmac_f16_e32 v18, 0x34f2, v60
	v_add_f16_e32 v60, v67, v101
	v_add_f16_e32 v67, v101, v102
	;; [unrolled: 1-line block ×4, first 2 shown]
	v_sub_f16_e32 v76, v100, v76
	v_add_f16_e32 v66, v60, v102
	v_fma_f16 v60, -0.5, v67, v34
	v_fmac_f16_e32 v34, -0.5, v71
	v_sub_f16_e32 v87, v108, v77
	v_sub_f16_e32 v88, v107, v108
	;; [unrolled: 1-line block ×3, first 2 shown]
	v_fmamk_f16 v67, v76, 0xbb9c, v60
	v_fmac_f16_e32 v60, 0x3b9c, v76
	v_fmamk_f16 v71, v82, 0x3b9c, v34
	v_fmac_f16_e32 v34, 0xbb9c, v82
	v_sub_f16_e32 v93, v70, v73
	v_fmac_f16_e32 v67, 0xb8b4, v82
	v_fmac_f16_e32 v60, 0x38b4, v82
	v_add_f16_e32 v82, v107, v108
	v_fmac_f16_e32 v71, 0xb8b4, v76
	v_fmac_f16_e32 v34, 0x38b4, v76
	;; [unrolled: 1-line block ×4, first 2 shown]
	v_fma_f16 v76, -0.5, v82, v16
	v_sub_f16_e32 v82, v89, v107
	v_sub_f16_e32 v83, v77, v108
	v_fmac_f16_e32 v71, 0x34f2, v84
	v_fmac_f16_e32 v34, 0x34f2, v84
	v_add_f16_e32 v84, v16, v89
	v_fmac_f16_e32 v16, -0.5, v86
	v_add_f16_e32 v82, v82, v83
	v_fmamk_f16 v83, v85, 0x3b9c, v76
	v_sub_f16_e32 v86, v106, v109
	v_fmac_f16_e32 v76, 0xbb9c, v85
	v_add_f16_e32 v84, v84, v107
	global_wb scope:SCOPE_SE
	s_wait_dscnt 0x0
	s_barrier_signal -1
	v_fmac_f16_e32 v83, 0x38b4, v86
	v_fmac_f16_e32 v76, 0xb8b4, v86
	v_add_f16_e32 v84, v84, v108
	s_barrier_wait -1
	global_inv scope:SCOPE_SE
	v_fmac_f16_e32 v83, 0x34f2, v82
	v_fmac_f16_e32 v76, 0x34f2, v82
	v_fmamk_f16 v82, v86, 0xbb9c, v16
	v_fmac_f16_e32 v16, 0x3b9c, v86
	v_sub_f16_e32 v86, v107, v89
	v_add_f16_e32 v84, v84, v77
	v_sub_f16_e32 v77, v89, v77
	v_fmac_f16_e32 v82, 0x38b4, v85
	v_fmac_f16_e32 v16, 0xb8b4, v85
	v_add_f16_e32 v86, v86, v87
	v_add_f16_e32 v87, v80, v110
	;; [unrolled: 1-line block ×3, first 2 shown]
	ds_store_b16 v22, v57
	ds_store_b16 v22, v45 offset:6
	ds_store_b16 v22, v51 offset:12
	;; [unrolled: 1-line block ×4, first 2 shown]
	v_mul_u32_u24_e32 v20, 30, v27
	v_fmac_f16_e32 v82, 0x34f2, v86
	v_fmac_f16_e32 v16, 0x34f2, v86
	v_add_f16_e32 v86, v106, v109
	ds_store_b16 v23, v74
	ds_store_b16 v23, v65 offset:6
	ds_store_b16 v23, v69 offset:12
	;; [unrolled: 1-line block ×4, first 2 shown]
	v_add3_u32 v25, 0, v20, v25
	v_mul_u32_u24_e32 v19, 30, v30
	v_lshlrev_b32_e32 v20, 1, v31
	v_fma_f16 v86, -0.5, v86, v33
	v_fmac_f16_e32 v33, -0.5, v87
	v_sub_f16_e32 v87, v80, v106
	v_sub_f16_e32 v80, v106, v80
	v_add_f16_e32 v40, v40, v94
	v_fmamk_f16 v89, v77, 0xbb9c, v86
	v_fmac_f16_e32 v86, 0x3b9c, v77
	v_fmamk_f16 v92, v88, 0x3b9c, v33
	v_add_f16_e32 v87, v87, v90
	v_fmac_f16_e32 v33, 0xbb9c, v88
	v_fmac_f16_e32 v89, 0xb8b4, v88
	v_fmac_f16_e32 v86, 0x38b4, v88
	v_add_f16_e32 v88, v68, v70
	v_fmac_f16_e32 v92, 0xb8b4, v77
	v_add_f16_e32 v80, v80, v91
	v_fmac_f16_e32 v89, 0x34f2, v87
	v_fmac_f16_e32 v86, 0x34f2, v87
	;; [unrolled: 1-line block ×3, first 2 shown]
	v_fma_f16 v77, -0.5, v88, v15
	v_sub_f16_e32 v87, v72, v68
	v_sub_f16_e32 v88, v73, v70
	;; [unrolled: 1-line block ×3, first 2 shown]
	v_add_f16_e32 v91, v72, v73
	v_fmac_f16_e32 v92, 0x34f2, v80
	v_fmac_f16_e32 v33, 0x34f2, v80
	v_add_f16_e32 v80, v15, v72
	v_add_f16_e32 v87, v87, v88
	v_fmamk_f16 v88, v90, 0x3b9c, v77
	v_fmac_f16_e32 v15, -0.5, v91
	v_sub_f16_e32 v91, v62, v63
	v_fmac_f16_e32 v77, 0xbb9c, v90
	v_add_f16_e32 v80, v80, v68
	ds_store_b16 v24, v81
	ds_store_b16 v24, v79 offset:6
	ds_store_b16 v24, v78 offset:12
	;; [unrolled: 1-line block ×4, first 2 shown]
	v_add3_u32 v26, 0, v19, v20
	v_fmac_f16_e32 v88, 0x38b4, v91
	v_fmac_f16_e32 v77, 0xb8b4, v91
	v_add_f16_e32 v80, v80, v70
	v_mul_u32_u24_e32 v18, 30, v36
	v_lshlrev_b32_e32 v19, 1, v37
	v_fmac_f16_e32 v88, 0x34f2, v87
	v_fmac_f16_e32 v77, 0x34f2, v87
	v_fmamk_f16 v87, v91, 0xbb9c, v15
	v_fmac_f16_e32 v15, 0x3b9c, v91
	v_sub_f16_e32 v91, v68, v72
	v_add_f16_e32 v80, v80, v73
	v_sub_f16_e32 v72, v72, v73
	v_fmac_f16_e32 v87, 0x38b4, v90
	v_fmac_f16_e32 v15, 0xb8b4, v90
	v_add_f16_e32 v91, v91, v93
	v_add_f16_e32 v90, v32, v61
	;; [unrolled: 1-line block ×3, first 2 shown]
	v_sub_f16_e32 v68, v68, v70
	v_sub_f16_e32 v93, v56, v58
	v_fmac_f16_e32 v87, 0x34f2, v91
	v_fmac_f16_e32 v15, 0x34f2, v91
	v_add_f16_e32 v91, v62, v63
	v_add_f16_e32 v90, v90, v62
	;; [unrolled: 1-line block ×3, first 2 shown]
	ds_store_b16 v25, v84
	ds_store_b16 v25, v83 offset:6
	ds_store_b16 v25, v82 offset:12
	;; [unrolled: 1-line block ×4, first 2 shown]
	v_add3_u32 v27, 0, v18, v19
	v_fma_f16 v91, -0.5, v91, v32
	v_add_f16_e32 v90, v90, v63
	v_fmac_f16_e32 v32, -0.5, v73
	v_sub_f16_e32 v73, v61, v62
	v_sub_f16_e32 v61, v62, v61
	v_fmamk_f16 v70, v72, 0xbb9c, v91
	v_sub_f16_e32 v62, v64, v63
	v_fmac_f16_e32 v91, 0x3b9c, v72
	v_sub_f16_e32 v63, v63, v64
	v_add_f16_e32 v90, v90, v64
	v_fmamk_f16 v64, v68, 0x3b9c, v32
	v_fmac_f16_e32 v70, 0xb8b4, v68
	v_add_f16_e32 v62, v73, v62
	v_fmac_f16_e32 v91, 0x38b4, v68
	v_add_f16_e32 v61, v61, v63
	;; [unrolled: 2-line block ×3, first 2 shown]
	v_fmac_f16_e32 v64, 0xb8b4, v72
	v_fmac_f16_e32 v70, 0x34f2, v62
	;; [unrolled: 1-line block ×4, first 2 shown]
	v_fma_f16 v62, -0.5, v63, v17
	v_sub_f16_e32 v63, v55, v52
	v_sub_f16_e32 v68, v58, v56
	;; [unrolled: 1-line block ×3, first 2 shown]
	v_add_f16_e32 v73, v55, v58
	v_fmac_f16_e32 v64, 0x34f2, v61
	v_fmac_f16_e32 v32, 0x34f2, v61
	v_add_f16_e32 v61, v17, v55
	v_add_f16_e32 v63, v63, v68
	v_fmamk_f16 v68, v72, 0x3b9c, v62
	v_fmac_f16_e32 v17, -0.5, v73
	v_sub_f16_e32 v73, v50, v53
	v_fmac_f16_e32 v62, 0xbb9c, v72
	v_add_f16_e32 v61, v61, v52
	v_add_f16_e32 v85, v85, v109
	;; [unrolled: 1-line block ×3, first 2 shown]
	v_fmac_f16_e32 v68, 0x38b4, v73
	v_fmac_f16_e32 v62, 0xb8b4, v73
	v_add_f16_e32 v61, v61, v56
	v_add_f16_e32 v66, v66, v104
	;; [unrolled: 1-line block ×3, first 2 shown]
	v_fmac_f16_e32 v68, 0x34f2, v63
	v_fmac_f16_e32 v62, 0x34f2, v63
	v_fmamk_f16 v63, v73, 0xbb9c, v17
	v_fmac_f16_e32 v17, 0x3b9c, v73
	v_sub_f16_e32 v73, v52, v55
	v_add_f16_e32 v61, v61, v58
	v_sub_f16_e32 v55, v55, v58
	v_fmac_f16_e32 v63, 0x38b4, v72
	v_fmac_f16_e32 v17, 0xb8b4, v72
	v_add_f16_e32 v73, v73, v93
	v_add_f16_e32 v72, v21, v48
	;; [unrolled: 1-line block ×3, first 2 shown]
	v_sub_f16_e32 v52, v52, v56
	s_delay_alu instid0(VALU_DEP_4)
	v_fmac_f16_e32 v63, 0x34f2, v73
	v_fmac_f16_e32 v17, 0x34f2, v73
	v_add_f16_e32 v72, v72, v50
	v_add_f16_e32 v73, v50, v53
	ds_store_b16 v26, v80
	ds_store_b16 v26, v88 offset:6
	ds_store_b16 v26, v87 offset:12
	;; [unrolled: 1-line block ×4, first 2 shown]
	ds_store_b16 v27, v61
	ds_store_b16 v27, v68 offset:6
	ds_store_b16 v27, v63 offset:12
	;; [unrolled: 1-line block ×4, first 2 shown]
	global_wb scope:SCOPE_SE
	s_wait_dscnt 0x0
	s_barrier_signal -1
	v_add_f16_e32 v72, v72, v53
	v_fma_f16 v73, -0.5, v73, v21
	v_fmac_f16_e32 v21, -0.5, v58
	v_sub_f16_e32 v58, v48, v50
	v_sub_f16_e32 v48, v50, v48
	v_add_f16_e32 v72, v72, v54
	v_fmamk_f16 v56, v55, 0xbb9c, v73
	v_sub_f16_e32 v50, v54, v53
	v_fmac_f16_e32 v73, 0x3b9c, v55
	v_sub_f16_e32 v53, v53, v54
	v_fmamk_f16 v54, v52, 0x3b9c, v21
	v_fmac_f16_e32 v21, 0xbb9c, v52
	v_fmac_f16_e32 v56, 0xb8b4, v52
	v_add_f16_e32 v50, v58, v50
	v_fmac_f16_e32 v73, 0x38b4, v52
	v_fmac_f16_e32 v54, 0xb8b4, v55
	v_add_f16_e32 v48, v48, v53
	v_fmac_f16_e32 v21, 0x38b4, v55
	v_fmac_f16_e32 v56, 0x34f2, v50
	;; [unrolled: 1-line block ×3, first 2 shown]
	s_barrier_wait -1
	v_fmac_f16_e32 v54, 0x34f2, v48
	v_fmac_f16_e32 v21, 0x34f2, v48
	global_inv scope:SCOPE_SE
	ds_load_u16 v44, v9 offset:1750
	ds_load_u16 v45, v9 offset:3250
	;; [unrolled: 1-line block ×4, first 2 shown]
	ds_load_u16 v20, v9
	ds_load_u16 v19, v9 offset:250
	ds_load_u16 v18, v9 offset:500
	;; [unrolled: 1-line block ×25, first 2 shown]
	global_wb scope:SCOPE_SE
	s_wait_dscnt 0x0
	s_barrier_signal -1
	s_barrier_wait -1
	global_inv scope:SCOPE_SE
	ds_store_b16 v22, v40
	ds_store_b16 v22, v41 offset:6
	ds_store_b16 v22, v42 offset:12
	;; [unrolled: 1-line block ×4, first 2 shown]
	v_mul_lo_u16 v22, v7, 15
	ds_store_b16 v23, v46
	ds_store_b16 v23, v47 offset:6
	ds_store_b16 v23, v49 offset:12
	ds_store_b16 v23, v35 offset:18
	ds_store_b16 v23, v43 offset:24
	ds_store_b16 v24, v66
	ds_store_b16 v24, v67 offset:6
	ds_store_b16 v24, v71 offset:12
	ds_store_b16 v24, v34 offset:18
	ds_store_b16 v24, v60 offset:24
	ds_store_b16 v25, v85
	ds_store_b16 v25, v89 offset:6
	ds_store_b16 v25, v92 offset:12
	ds_store_b16 v25, v33 offset:18
	ds_store_b16 v25, v86 offset:24
	ds_store_b16 v26, v90
	ds_store_b16 v26, v70 offset:6
	ds_store_b16 v26, v64 offset:12
	ds_store_b16 v26, v32 offset:18
	ds_store_b16 v26, v91 offset:24
	v_sub_nc_u16 v22, v6, v22
	ds_store_b16 v27, v72
	ds_store_b16 v27, v56 offset:6
	ds_store_b16 v27, v54 offset:12
	;; [unrolled: 1-line block ×4, first 2 shown]
	v_mul_lo_u16 v21, 0x89, v1
	global_wb scope:SCOPE_SE
	s_wait_dscnt 0x0
	s_barrier_signal -1
	v_and_b32_e32 v22, 0xff, v22
	s_barrier_wait -1
	global_inv scope:SCOPE_SE
	v_lshrrev_b16 v24, 11, v21
	v_mul_u32_u24_e32 v25, 0x8889, v0
	v_lshlrev_b32_e32 v23, 4, v22
	v_and_b32_e32 v7, 0xffff, v7
	v_lshlrev_b32_e32 v22, 1, v22
	v_mul_lo_u16 v21, v24, 15
	v_lshrrev_b32_e32 v25, 19, v25
	global_load_b128 v[27:30], v23, s[4:5] offset:48
	v_and_b32_e32 v24, 0xffff, v24
	v_mul_u32_u24_e32 v7, 0x96, v7
	v_sub_nc_u16 v21, v12, v21
	v_mul_lo_u16 v1, 0xdb, v1
	v_mul_u32_u24_e32 v0, 0xb4e9, v0
	v_mul_u32_u24_e32 v24, 0x96, v24
	v_add3_u32 v7, 0, v7, v22
	v_and_b32_e32 v23, 0xff, v21
	s_delay_alu instid0(VALU_DEP_4) | instskip(NEXT) | instid1(VALU_DEP_2)
	v_lshrrev_b32_e32 v0, 16, v0
	v_lshlrev_b32_e32 v21, 4, v23
	v_lshlrev_b32_e32 v23, 1, v23
	global_load_b128 v[31:34], v21, s[4:5] offset:48
	v_mul_lo_u16 v21, v25, 15
	v_add3_u32 v22, 0, v24, v23
	v_mul_u32_u24_e32 v23, 0x96, v25
	s_delay_alu instid0(VALU_DEP_3) | instskip(NEXT) | instid1(VALU_DEP_1)
	v_sub_nc_u16 v21, v13, v21
	v_and_b32_e32 v26, 0xffff, v21
	s_delay_alu instid0(VALU_DEP_1)
	v_lshlrev_b32_e32 v21, 4, v26
	v_lshlrev_b32_e32 v24, 1, v26
	global_load_b128 v[35:38], v21, s[4:5] offset:48
	ds_load_u16 v43, v9 offset:1750
	ds_load_u16 v46, v9 offset:3250
	;; [unrolled: 1-line block ×24, first 2 shown]
	s_wait_loadcnt 0x2
	v_lshrrev_b32_e32 v86, 16, v27
	v_lshrrev_b32_e32 v87, 16, v28
	;; [unrolled: 1-line block ×4, first 2 shown]
	s_wait_dscnt 0x10
	v_mul_f16_e32 v90, v39, v86
	v_mul_f16_e32 v86, v57, v86
	s_wait_dscnt 0xe
	v_mul_f16_e32 v91, v40, v87
	v_mul_f16_e32 v87, v58, v87
	v_fma_f16 v90, v57, v27, -v90
	v_fmac_f16_e32 v86, v39, v27
	v_mul_lo_u16 v27, v3, 15
	v_fma_f16 v58, v58, v28, -v91
	v_fmac_f16_e32 v87, v40, v28
	s_wait_dscnt 0x7
	v_mul_f16_e32 v28, v41, v88
	v_mul_f16_e32 v88, v69, v88
	v_sub_nc_u16 v27, v14, v27
	s_wait_dscnt 0x5
	v_mul_f16_e32 v39, v42, v89
	v_mul_f16_e32 v89, v75, v89
	v_fma_f16 v91, v69, v29, -v28
	v_fmac_f16_e32 v88, v41, v29
	v_and_b32_e32 v27, 0xffff, v27
	v_fma_f16 v75, v75, v30, -v39
	v_fmac_f16_e32 v89, v42, v30
	s_wait_loadcnt 0x1
	v_lshrrev_b32_e32 v29, 16, v32
	v_lshrrev_b32_e32 v28, 16, v31
	v_lshlrev_b32_e32 v30, 4, v27
	v_lshrrev_b32_e32 v57, 16, v33
	v_mul_u32_u24_e32 v3, 0x96, v3
	v_mul_f16_e32 v94, v45, v29
	v_mul_f16_e32 v69, v43, v28
	global_load_b128 v[39:42], v30, s[4:5] offset:48
	v_mul_f16_e32 v30, v46, v29
	v_mul_lo_u16 v29, v2, 15
	v_mul_f16_e32 v92, v44, v28
	v_lshrrev_b32_e32 v28, 16, v34
	v_fma_f16 v93, v44, v31, -v69
	v_fma_f16 v95, v45, v32, -v30
	v_sub_nc_u16 v29, v10, v29
	v_fmac_f16_e32 v92, v43, v31
	v_mul_f16_e32 v30, v64, v57
	s_wait_dscnt 0x4
	v_mul_f16_e32 v31, v81, v28
	v_mul_f16_e32 v98, v76, v28
	v_and_b32_e32 v29, 0xffff, v29
	s_wait_loadcnt 0x1
	v_lshrrev_b32_e32 v28, 16, v35
	v_fma_f16 v97, v61, v33, -v30
	v_fma_f16 v76, v76, v34, -v31
	v_lshrrev_b32_e32 v31, 19, v8
	v_lshlrev_b32_e32 v30, 4, v29
	v_fmac_f16_e32 v94, v46, v32
	v_lshrrev_b32_e32 v32, 16, v36
	v_mul_f16_e32 v8, v54, v28
	v_mul_f16_e32 v96, v61, v57
	global_load_b128 v[43:46], v30, s[4:5] offset:48
	v_mul_lo_u16 v30, v31, 15
	v_fmac_f16_e32 v98, v81, v34
	v_fma_f16 v99, v51, v35, -v8
	v_mul_f16_e32 v8, v47, v32
	v_mul_f16_e32 v81, v51, v28
	v_sub_nc_u16 v30, v11, v30
	v_lshrrev_b32_e32 v28, 16, v37
	v_mul_f16_e32 v100, v48, v32
	v_fma_f16 v101, v48, v36, -v8
	v_lshrrev_b32_e32 v8, 16, v38
	v_and_b32_e32 v32, 0xffff, v30
	v_fmac_f16_e32 v96, v64, v33
	v_mul_f16_e32 v33, v67, v28
	v_mul_f16_e32 v103, v62, v28
	s_wait_dscnt 0x3
	v_mul_f16_e32 v28, v82, v8
	v_mul_f16_e32 v104, v77, v8
	v_lshlrev_b32_e32 v8, 4, v32
	v_fmac_f16_e32 v81, v54, v35
	v_fmac_f16_e32 v100, v47, v36
	v_fma_f16 v102, v62, v37, -v33
	v_fma_f16 v77, v77, v38, -v28
	global_load_b128 v[33:36], v8, s[4:5] offset:48
	v_fmac_f16_e32 v104, v82, v38
	v_fmac_f16_e32 v103, v67, v37
	v_mul_u32_u24_e32 v2, 0x96, v2
	s_wait_loadcnt 0x2
	v_lshrrev_b32_e32 v8, 16, v39
	v_lshrrev_b32_e32 v30, 16, v40
	;; [unrolled: 1-line block ×3, first 2 shown]
	s_delay_alu instid0(VALU_DEP_3) | instskip(SKIP_1) | instid1(VALU_DEP_4)
	v_mul_f16_e32 v28, v56, v8
	v_mul_f16_e32 v82, v52, v8
	;; [unrolled: 1-line block ×4, first 2 shown]
	ds_load_u16 v30, v9 offset:4000
	v_fma_f16 v105, v52, v39, -v28
	v_lshrrev_b32_e32 v28, 16, v41
	v_fma_f16 v107, v50, v40, -v8
	v_mul_f16_e32 v110, v78, v37
	v_fmac_f16_e32 v82, v56, v39
	v_fmac_f16_e32 v106, v49, v40
	v_mul_f16_e32 v8, v70, v28
	v_mul_f16_e32 v108, v63, v28
	s_wait_dscnt 0x3
	v_fmac_f16_e32 v110, v83, v42
	v_sub_f16_e32 v49, v58, v90
	v_sub_f16_e32 v50, v91, v75
	v_fma_f16 v109, v63, v41, -v8
	v_mul_f16_e32 v8, v83, v37
	s_wait_loadcnt 0x1
	v_lshrrev_b32_e32 v28, 16, v43
	v_lshrrev_b32_e32 v39, 16, v46
	v_fmac_f16_e32 v108, v70, v41
	v_add_f16_e32 v49, v49, v50
	v_fma_f16 v78, v78, v42, -v8
	v_lshrrev_b32_e32 v8, 16, v44
	v_mul_f16_e32 v37, v60, v28
	v_mul_f16_e32 v57, v53, v28
	v_lshrrev_b32_e32 v28, 16, v45
	v_mul_f16_e32 v62, v79, v39
	s_wait_dscnt 0x0
	v_mul_f16_e32 v38, v30, v8
	v_fma_f16 v69, v53, v43, -v37
	v_fmac_f16_e32 v57, v60, v43
	v_mul_f16_e32 v60, v55, v8
	v_mul_f16_e32 v8, v71, v28
	;; [unrolled: 1-line block ×4, first 2 shown]
	v_fma_f16 v63, v55, v44, -v38
	v_fmac_f16_e32 v60, v30, v44
	v_fma_f16 v64, v65, v45, -v8
	v_fmac_f16_e32 v61, v71, v45
	s_wait_loadcnt 0x0
	v_lshrrev_b32_e32 v8, 16, v33
	v_fma_f16 v70, v79, v46, -v28
	v_lshrrev_b32_e32 v28, 16, v34
	v_lshrrev_b32_e32 v30, 16, v35
	;; [unrolled: 1-line block ×3, first 2 shown]
	v_mul_f16_e32 v38, v66, v8
	v_mul_f16_e32 v41, v59, v8
	;; [unrolled: 1-line block ×5, first 2 shown]
	v_fma_f16 v51, v59, v33, -v38
	v_fmac_f16_e32 v41, v66, v33
	ds_load_u16 v33, v9
	v_fma_f16 v45, v74, v34, -v8
	v_add_f16_e32 v8, v58, v91
	v_mul_f16_e32 v47, v68, v30
	v_add_f16_e32 v30, v20, v90
	v_fmac_f16_e32 v62, v84, v46
	v_fma_f16 v46, v68, v35, -v28
	v_mul_f16_e32 v28, v85, v37
	v_mul_f16_e32 v48, v80, v37
	v_fma_f16 v39, -0.5, v8, v20
	v_sub_f16_e32 v37, v86, v89
	v_fmac_f16_e32 v47, v72, v35
	v_add_f16_e32 v35, v30, v58
	v_fma_f16 v54, v80, v36, -v28
	v_fmac_f16_e32 v48, v85, v36
	v_fmamk_f16 v40, v37, 0x3b9c, v39
	v_sub_f16_e32 v36, v87, v88
	v_sub_f16_e32 v38, v90, v58
	v_sub_f16_e32 v43, v75, v91
	v_add_f16_e32 v44, v90, v75
	v_add_f16_e32 v35, v35, v91
	v_fmac_f16_e32 v39, 0xbb9c, v37
	v_fmac_f16_e32 v40, 0x38b4, v36
	v_add_f16_e32 v38, v38, v43
	v_fmac_f16_e32 v20, -0.5, v44
	v_add_f16_e32 v43, v35, v75
	s_wait_dscnt 0x0
	v_add_f16_e32 v35, v33, v86
	v_add_f16_e32 v50, v87, v88
	v_fmac_f16_e32 v39, 0xb8b4, v36
	v_fmac_f16_e32 v40, 0x34f2, v38
	v_fmamk_f16 v44, v36, 0xbb9c, v20
	v_fmac_f16_e32 v20, 0x3b9c, v36
	v_add_f16_e32 v36, v35, v87
	v_fma_f16 v35, -0.5, v50, v33
	v_sub_f16_e32 v50, v90, v75
	v_fmac_f16_e32 v39, 0x34f2, v38
	v_add_f16_e32 v38, v86, v89
	v_fmac_f16_e32 v44, 0x38b4, v37
	v_fmac_f16_e32 v20, 0xb8b4, v37
	v_add_f16_e32 v37, v36, v88
	v_fmamk_f16 v36, v50, 0xbb9c, v35
	v_sub_f16_e32 v52, v58, v91
	v_sub_f16_e32 v53, v86, v87
	;; [unrolled: 1-line block ×3, first 2 shown]
	v_fmac_f16_e32 v33, -0.5, v38
	v_fmac_f16_e32 v35, 0x3b9c, v50
	v_fmac_f16_e32 v42, v73, v34
	ds_load_u16 v34, v9 offset:250
	ds_load_u16 v30, v9 offset:500
	;; [unrolled: 1-line block ×4, first 2 shown]
	v_fmac_f16_e32 v44, 0x34f2, v49
	v_fmac_f16_e32 v20, 0x34f2, v49
	;; [unrolled: 1-line block ×3, first 2 shown]
	v_add_f16_e32 v49, v53, v55
	v_fmamk_f16 v38, v52, 0x3b9c, v33
	v_sub_f16_e32 v53, v87, v86
	v_sub_f16_e32 v55, v88, v89
	v_fmac_f16_e32 v35, 0x38b4, v52
	v_fmac_f16_e32 v33, 0xbb9c, v52
	v_add_f16_e32 v52, v19, v93
	v_fmac_f16_e32 v36, 0x34f2, v49
	v_add_f16_e32 v56, v95, v97
	;; [unrolled: 2-line block ×3, first 2 shown]
	v_fmac_f16_e32 v35, 0x34f2, v49
	v_fmac_f16_e32 v33, 0x38b4, v50
	v_add_f16_e32 v49, v52, v95
	v_sub_f16_e32 v52, v93, v95
	v_sub_f16_e32 v59, v76, v97
	v_add_f16_e32 v65, v93, v76
	v_fma_f16 v55, -0.5, v56, v19
	v_sub_f16_e32 v56, v92, v98
	v_fmac_f16_e32 v38, 0x34f2, v53
	v_sub_f16_e32 v50, v94, v96
	v_fmac_f16_e32 v33, 0x34f2, v53
	v_add_f16_e32 v49, v49, v97
	v_add_f16_e32 v52, v52, v59
	v_fmac_f16_e32 v19, -0.5, v65
	v_sub_f16_e32 v53, v95, v93
	v_sub_f16_e32 v59, v97, v76
	v_fmamk_f16 v58, v56, 0x3b9c, v55
	v_add_f16_e32 v65, v49, v76
	v_fmac_f16_e32 v55, 0xbb9c, v56
	v_fmamk_f16 v67, v50, 0xbb9c, v19
	v_add_f16_e32 v53, v53, v59
	s_wait_dscnt 0x3
	v_add_f16_e32 v49, v34, v92
	v_add_f16_e32 v59, v94, v96
	v_fmac_f16_e32 v19, 0x3b9c, v50
	v_fmac_f16_e32 v58, 0x38b4, v50
	;; [unrolled: 1-line block ×4, first 2 shown]
	v_add_f16_e32 v50, v49, v94
	v_fma_f16 v49, -0.5, v59, v34
	v_sub_f16_e32 v59, v93, v76
	v_fmac_f16_e32 v19, 0xb8b4, v56
	v_add_f16_e32 v56, v92, v98
	v_fmac_f16_e32 v58, 0x34f2, v52
	v_fmac_f16_e32 v55, 0x34f2, v52
	v_add_f16_e32 v52, v50, v96
	v_fmamk_f16 v50, v59, 0xbb9c, v49
	v_sub_f16_e32 v66, v95, v97
	v_sub_f16_e32 v68, v92, v94
	;; [unrolled: 1-line block ×3, first 2 shown]
	v_fmac_f16_e32 v34, -0.5, v56
	v_fmac_f16_e32 v49, 0x3b9c, v59
	v_fmac_f16_e32 v67, 0x34f2, v53
	;; [unrolled: 1-line block ×4, first 2 shown]
	v_add_f16_e32 v56, v68, v71
	v_fmamk_f16 v53, v66, 0x3b9c, v34
	v_sub_f16_e32 v68, v94, v92
	v_sub_f16_e32 v71, v96, v98
	v_fmac_f16_e32 v49, 0x38b4, v66
	v_fmac_f16_e32 v34, 0xbb9c, v66
	v_add_f16_e32 v66, v18, v99
	v_fmac_f16_e32 v50, 0x34f2, v56
	v_add_f16_e32 v72, v101, v102
	;; [unrolled: 2-line block ×3, first 2 shown]
	v_fmac_f16_e32 v49, 0x34f2, v56
	v_fmac_f16_e32 v34, 0x38b4, v59
	v_add_f16_e32 v56, v66, v101
	v_sub_f16_e32 v66, v99, v101
	v_sub_f16_e32 v74, v77, v102
	v_add_f16_e32 v75, v99, v77
	v_fma_f16 v71, -0.5, v72, v18
	v_sub_f16_e32 v72, v81, v104
	v_fmac_f16_e32 v53, 0x34f2, v68
	v_sub_f16_e32 v59, v100, v103
	v_fmac_f16_e32 v34, 0x34f2, v68
	v_add_f16_e32 v56, v56, v102
	v_add_f16_e32 v66, v66, v74
	v_fmac_f16_e32 v18, -0.5, v75
	v_sub_f16_e32 v68, v101, v99
	v_sub_f16_e32 v74, v102, v77
	v_fmamk_f16 v73, v72, 0x3b9c, v71
	v_add_f16_e32 v75, v56, v77
	v_fmac_f16_e32 v71, 0xbb9c, v72
	v_fmamk_f16 v76, v59, 0xbb9c, v18
	v_add_f16_e32 v68, v68, v74
	s_wait_dscnt 0x2
	v_add_f16_e32 v56, v30, v81
	v_add_f16_e32 v74, v100, v103
	v_fmac_f16_e32 v18, 0x3b9c, v59
	v_fmac_f16_e32 v73, 0x38b4, v59
	;; [unrolled: 1-line block ×4, first 2 shown]
	v_add_f16_e32 v59, v56, v100
	v_fma_f16 v56, -0.5, v74, v30
	v_sub_f16_e32 v74, v99, v77
	v_fmac_f16_e32 v18, 0xb8b4, v72
	v_add_f16_e32 v72, v81, v104
	v_fmac_f16_e32 v73, 0x34f2, v66
	v_fmac_f16_e32 v71, 0x34f2, v66
	v_add_f16_e32 v66, v59, v103
	v_fmamk_f16 v59, v74, 0xbb9c, v56
	v_sub_f16_e32 v77, v101, v102
	v_sub_f16_e32 v79, v81, v100
	;; [unrolled: 1-line block ×3, first 2 shown]
	v_fmac_f16_e32 v30, -0.5, v72
	v_fmac_f16_e32 v56, 0x3b9c, v74
	v_fmac_f16_e32 v76, 0x34f2, v68
	;; [unrolled: 1-line block ×4, first 2 shown]
	v_add_f16_e32 v72, v79, v80
	v_fmamk_f16 v68, v77, 0x3b9c, v30
	v_sub_f16_e32 v79, v100, v81
	v_sub_f16_e32 v80, v103, v104
	v_fmac_f16_e32 v56, 0x38b4, v77
	v_add_f16_e32 v81, v107, v109
	v_fmac_f16_e32 v30, 0xbb9c, v77
	v_add_f16_e32 v77, v16, v105
	v_add_f16_e32 v85, v105, v78
	v_fmac_f16_e32 v59, 0x34f2, v72
	v_fmac_f16_e32 v68, 0xb8b4, v74
	v_add_f16_e32 v79, v79, v80
	v_fma_f16 v80, -0.5, v81, v16
	v_fmac_f16_e32 v56, 0x34f2, v72
	v_fmac_f16_e32 v30, 0x38b4, v74
	v_add_f16_e32 v72, v77, v107
	v_sub_f16_e32 v77, v106, v108
	v_sub_f16_e32 v83, v105, v107
	;; [unrolled: 1-line block ×3, first 2 shown]
	v_fmac_f16_e32 v16, -0.5, v85
	v_sub_f16_e32 v81, v82, v110
	v_fmac_f16_e32 v68, 0x34f2, v79
	v_fmac_f16_e32 v30, 0x34f2, v79
	v_add_f16_e32 v79, v83, v84
	v_sub_f16_e32 v83, v107, v105
	v_sub_f16_e32 v84, v109, v78
	v_fmamk_f16 v85, v77, 0xbb9c, v16
	v_fmac_f16_e32 v16, 0x3b9c, v77
	v_fmamk_f16 v74, v81, 0x3b9c, v80
	v_fmac_f16_e32 v80, 0xbb9c, v81
	v_add_f16_e32 v83, v83, v84
	s_wait_dscnt 0x1
	v_add_f16_e32 v84, v8, v82
	v_add_f16_e32 v86, v106, v108
	v_fmac_f16_e32 v85, 0x38b4, v81
	v_fmac_f16_e32 v16, 0xb8b4, v81
	v_add_f16_e32 v81, v82, v110
	v_add_f16_e32 v72, v72, v109
	v_fmac_f16_e32 v74, 0x38b4, v77
	v_fmac_f16_e32 v80, 0xb8b4, v77
	v_add_f16_e32 v77, v84, v106
	v_fma_f16 v84, -0.5, v86, v8
	v_sub_f16_e32 v86, v107, v109
	v_sub_f16_e32 v87, v82, v106
	;; [unrolled: 1-line block ×3, first 2 shown]
	v_fmac_f16_e32 v8, -0.5, v81
	v_add_f16_e32 v72, v72, v78
	v_sub_f16_e32 v78, v105, v78
	v_fmac_f16_e32 v85, 0x34f2, v83
	v_fmac_f16_e32 v16, 0x34f2, v83
	v_add_f16_e32 v81, v87, v88
	v_fmamk_f16 v83, v86, 0x3b9c, v8
	v_sub_f16_e32 v82, v106, v82
	v_sub_f16_e32 v87, v108, v110
	v_fmac_f16_e32 v8, 0xbb9c, v86
	v_add_f16_e32 v37, v37, v89
	v_fmac_f16_e32 v74, 0x34f2, v79
	v_fmac_f16_e32 v80, 0x34f2, v79
	v_fmamk_f16 v79, v78, 0xbb9c, v84
	v_fmac_f16_e32 v84, 0x3b9c, v78
	v_add_f16_e32 v88, v63, v64
	v_fmac_f16_e32 v83, 0xb8b4, v78
	v_add_f16_e32 v82, v82, v87
	v_fmac_f16_e32 v8, 0x38b4, v78
	v_sub_f16_e32 v89, v69, v63
	v_sub_f16_e32 v90, v70, v64
	v_fmac_f16_e32 v79, 0xb8b4, v86
	v_fmac_f16_e32 v84, 0x38b4, v86
	v_add_f16_e32 v86, v15, v69
	v_fma_f16 v87, -0.5, v88, v15
	v_sub_f16_e32 v88, v57, v62
	v_fmac_f16_e32 v83, 0x34f2, v82
	v_add_f16_e32 v91, v69, v70
	v_fmac_f16_e32 v8, 0x34f2, v82
	v_add_f16_e32 v82, v89, v90
	v_sub_f16_e32 v89, v63, v69
	v_sub_f16_e32 v90, v64, v70
	v_fmac_f16_e32 v79, 0x34f2, v81
	v_fmac_f16_e32 v84, 0x34f2, v81
	v_add_f16_e32 v78, v86, v63
	v_fmamk_f16 v81, v88, 0x3b9c, v87
	v_sub_f16_e32 v86, v60, v61
	v_fmac_f16_e32 v15, -0.5, v91
	v_fmac_f16_e32 v87, 0xbb9c, v88
	v_add_f16_e32 v89, v89, v90
	s_wait_dscnt 0x0
	v_add_f16_e32 v90, v28, v57
	v_add_f16_e32 v78, v78, v64
	v_fmac_f16_e32 v81, 0x38b4, v86
	v_fmamk_f16 v91, v86, 0xbb9c, v15
	v_add_f16_e32 v92, v60, v61
	v_fmac_f16_e32 v87, 0xb8b4, v86
	v_fmac_f16_e32 v15, 0x3b9c, v86
	v_add_f16_e32 v86, v90, v60
	v_add_f16_e32 v78, v78, v70
	v_fma_f16 v90, -0.5, v92, v28
	v_sub_f16_e32 v69, v69, v70
	v_fmac_f16_e32 v81, 0x34f2, v82
	v_add_f16_e32 v70, v86, v61
	v_add_f16_e32 v86, v57, v62
	v_fmac_f16_e32 v91, 0x38b4, v88
	v_fmac_f16_e32 v87, 0x34f2, v82
	;; [unrolled: 1-line block ×3, first 2 shown]
	v_fmamk_f16 v82, v69, 0xbb9c, v90
	v_sub_f16_e32 v63, v63, v64
	v_sub_f16_e32 v64, v57, v60
	;; [unrolled: 1-line block ×3, first 2 shown]
	v_fmac_f16_e32 v28, -0.5, v86
	v_fmac_f16_e32 v90, 0x3b9c, v69
	v_sub_f16_e32 v57, v60, v57
	v_sub_f16_e32 v60, v61, v62
	v_add_f16_e32 v61, v45, v46
	v_add_f16_e32 v70, v70, v62
	v_fmac_f16_e32 v82, 0xb8b4, v63
	v_add_f16_e32 v64, v64, v88
	v_fmamk_f16 v86, v63, 0x3b9c, v28
	v_fmac_f16_e32 v90, 0x38b4, v63
	v_fmac_f16_e32 v28, 0xbb9c, v63
	v_fma_f16 v61, -0.5, v61, v17
	v_sub_f16_e32 v62, v41, v48
	v_fmac_f16_e32 v82, 0x34f2, v64
	v_fmac_f16_e32 v86, 0xb8b4, v69
	v_add_f16_e32 v57, v57, v60
	v_add_f16_e32 v60, v17, v51
	v_fmac_f16_e32 v90, 0x34f2, v64
	v_fmac_f16_e32 v28, 0x38b4, v69
	v_fmamk_f16 v63, v62, 0x3b9c, v61
	v_sub_f16_e32 v64, v42, v47
	v_sub_f16_e32 v69, v51, v45
	;; [unrolled: 1-line block ×3, first 2 shown]
	v_fmac_f16_e32 v61, 0xbb9c, v62
	v_fmac_f16_e32 v91, 0x34f2, v89
	;; [unrolled: 1-line block ×3, first 2 shown]
	v_add_f16_e32 v60, v60, v45
	v_add_f16_e32 v89, v51, v54
	v_fmac_f16_e32 v63, 0x38b4, v64
	v_add_f16_e32 v69, v69, v88
	v_fmac_f16_e32 v61, 0xb8b4, v64
	v_add_f16_e32 v60, v60, v46
	v_fmac_f16_e32 v17, -0.5, v89
	v_add_f16_e32 v88, v42, v47
	v_fmac_f16_e32 v63, 0x34f2, v69
	v_fmac_f16_e32 v61, 0x34f2, v69
	v_add_f16_e32 v69, v21, v41
	global_wb scope:SCOPE_SE
	s_barrier_signal -1
	s_barrier_wait -1
	global_inv scope:SCOPE_SE
	ds_store_b16 v7, v43
	ds_store_b16 v7, v40 offset:30
	ds_store_b16 v7, v44 offset:60
	;; [unrolled: 1-line block ×4, first 2 shown]
	v_add3_u32 v20, 0, v23, v24
	v_lshlrev_b32_e32 v23, 1, v27
	v_fmac_f16_e32 v86, 0x34f2, v57
	v_fmac_f16_e32 v28, 0x34f2, v57
	v_add_f16_e32 v57, v60, v54
	v_fmamk_f16 v60, v64, 0xbb9c, v17
	v_sub_f16_e32 v89, v45, v51
	v_sub_f16_e32 v92, v46, v54
	v_fmac_f16_e32 v17, 0x3b9c, v64
	v_add_f16_e32 v64, v69, v42
	v_fma_f16 v69, -0.5, v88, v21
	v_add_f16_e32 v88, v41, v48
	ds_store_b16 v22, v65
	ds_store_b16 v22, v58 offset:30
	ds_store_b16 v22, v67 offset:60
	;; [unrolled: 1-line block ×4, first 2 shown]
	v_add3_u32 v19, 0, v3, v23
	v_lshlrev_b32_e32 v3, 1, v29
	v_sub_f16_e32 v51, v51, v54
	v_fmac_f16_e32 v60, 0x38b4, v62
	v_add_f16_e32 v54, v89, v92
	v_fmac_f16_e32 v17, 0xb8b4, v62
	v_add_f16_e32 v62, v64, v47
	v_sub_f16_e32 v45, v45, v46
	v_fmac_f16_e32 v21, -0.5, v88
	ds_store_b16 v20, v75
	ds_store_b16 v20, v73 offset:30
	ds_store_b16 v20, v76 offset:60
	;; [unrolled: 1-line block ×4, first 2 shown]
	v_add3_u32 v18, 0, v2, v3
	v_mul_u32_u24_e32 v2, 0x96, v31
	v_lshlrev_b32_e32 v3, 1, v32
	v_add_f16_e32 v77, v77, v108
	v_fmamk_f16 v64, v51, 0xbb9c, v69
	v_fmac_f16_e32 v60, 0x34f2, v54
	v_fmac_f16_e32 v17, 0x34f2, v54
	v_add_f16_e32 v46, v62, v48
	v_sub_f16_e32 v54, v41, v42
	v_sub_f16_e32 v62, v48, v47
	v_fmac_f16_e32 v69, 0x3b9c, v51
	v_fmamk_f16 v88, v45, 0x3b9c, v21
	v_sub_f16_e32 v41, v42, v41
	v_sub_f16_e32 v42, v47, v48
	v_fmac_f16_e32 v21, 0xbb9c, v45
	v_add3_u32 v23, 0, v2, v3
	v_add_nc_u32_e32 v3, 0xffffffb5, v6
	v_add_f16_e32 v66, v66, v104
	v_add_f16_e32 v77, v77, v110
	v_fmac_f16_e32 v64, 0xb8b4, v45
	v_add_f16_e32 v47, v54, v62
	v_fmac_f16_e32 v69, 0x38b4, v45
	v_fmac_f16_e32 v88, 0xb8b4, v51
	v_add_f16_e32 v41, v41, v42
	v_fmac_f16_e32 v21, 0x38b4, v51
	s_wait_alu 0xf1ff
	v_cndmask_b32_e64 v3, v3, v6, s0
	v_add_f16_e32 v52, v52, v98
	v_fmac_f16_e32 v64, 0x34f2, v47
	v_fmac_f16_e32 v69, 0x34f2, v47
	;; [unrolled: 1-line block ×4, first 2 shown]
	ds_store_b16 v19, v72
	ds_store_b16 v19, v74 offset:30
	ds_store_b16 v19, v85 offset:60
	ds_store_b16 v19, v16 offset:90
	ds_store_b16 v19, v80 offset:120
	ds_store_b16 v18, v78
	ds_store_b16 v18, v81 offset:30
	ds_store_b16 v18, v91 offset:60
	ds_store_b16 v18, v15 offset:90
	ds_store_b16 v18, v87 offset:120
	;; [unrolled: 5-line block ×3, first 2 shown]
	global_wb scope:SCOPE_SE
	s_wait_dscnt 0x0
	s_barrier_signal -1
	s_barrier_wait -1
	global_inv scope:SCOPE_SE
	ds_load_u16 v25, v9
	ds_load_u16 v17, v9 offset:250
	ds_load_u16 v24, v9 offset:1000
	;; [unrolled: 1-line block ×29, first 2 shown]
	global_wb scope:SCOPE_SE
	s_wait_dscnt 0x0
	s_barrier_signal -1
	s_barrier_wait -1
	global_inv scope:SCOPE_SE
	ds_store_b16 v7, v37
	ds_store_b16 v7, v36 offset:30
	ds_store_b16 v7, v38 offset:60
	ds_store_b16 v7, v33 offset:90
	ds_store_b16 v7, v35 offset:120
	ds_store_b16 v22, v52
	ds_store_b16 v22, v50 offset:30
	ds_store_b16 v22, v53 offset:60
	ds_store_b16 v22, v34 offset:90
	ds_store_b16 v22, v49 offset:120
	;; [unrolled: 5-line block ×4, first 2 shown]
	v_mul_i32_i24_e32 v7, 9, v3
	v_mov_b32_e32 v8, 0
	ds_store_b16 v18, v70
	ds_store_b16 v18, v82 offset:30
	ds_store_b16 v18, v86 offset:60
	;; [unrolled: 1-line block ×4, first 2 shown]
	ds_store_b16 v23, v46
	ds_store_b16 v23, v64 offset:30
	ds_store_b16 v23, v88 offset:60
	;; [unrolled: 1-line block ×4, first 2 shown]
	global_wb scope:SCOPE_SE
	s_wait_dscnt 0x0
	s_barrier_signal -1
	v_lshlrev_b64_e32 v[15:16], 2, v[7:8]
	s_barrier_wait -1
	global_inv scope:SCOPE_SE
	v_lshrrev_b16 v7, 14, v1
	v_sub_nc_u16 v34, v13, v0
	v_lshlrev_b32_e32 v3, 1, v3
	v_add_co_u32 v15, s0, s4, v15
	s_wait_alu 0xf1ff
	v_add_co_ci_u32_e64 v16, s0, s5, v16, s0
	s_clause 0x1
	global_load_b128 v[18:21], v[15:16], off offset:288
	global_load_b128 v[26:29], v[15:16], off offset:304
	v_mul_lo_u16 v1, 0x4b, v7
	v_lshrrev_b16 v34, 1, v34
	v_and_b32_e32 v7, 0xffff, v7
	v_cmp_lt_u32_e64 s0, 0x4a, v6
	s_delay_alu instid0(VALU_DEP_4) | instskip(NEXT) | instid1(VALU_DEP_4)
	v_sub_nc_u16 v1, v12, v1
	v_add_nc_u16 v0, v34, v0
	s_delay_alu instid0(VALU_DEP_4) | instskip(NEXT) | instid1(VALU_DEP_3)
	v_mul_u32_u24_e32 v7, 0x5dc, v7
	v_and_b32_e32 v1, 0xff, v1
	s_delay_alu instid0(VALU_DEP_3) | instskip(NEXT) | instid1(VALU_DEP_2)
	v_lshrrev_b16 v0, 6, v0
	v_mul_u32_u24_e32 v22, 9, v1
	v_lshlrev_b32_e32 v1, 1, v1
	s_delay_alu instid0(VALU_DEP_2)
	v_lshlrev_b32_e32 v22, 2, v22
	s_clause 0x1
	global_load_b128 v[30:33], v22, s[4:5] offset:288
	global_load_b32 v23, v[15:16], off offset:320
	ds_load_u16 v38, v9 offset:1000
	ds_load_u16 v52, v9 offset:1750
	;; [unrolled: 1-line block ×23, first 2 shown]
	v_add3_u32 v1, 0, v7, v1
	s_wait_loadcnt 0x3
	v_lshrrev_b32_e32 v35, 16, v18
	v_lshrrev_b32_e32 v85, 16, v19
	;; [unrolled: 1-line block ×4, first 2 shown]
	s_wait_dscnt 0xd
	v_mul_f16_e32 v88, v46, v35
	v_mul_f16_e32 v89, v43, v35
	;; [unrolled: 1-line block ×4, first 2 shown]
	global_load_b128 v[34:37], v22, s[4:5] offset:304
	v_fma_f16 v88, v43, v18, -v88
	v_fmac_f16_e32 v89, v46, v18
	v_mul_lo_u16 v18, 0x4b, v0
	v_fmac_f16_e32 v85, v15, v19
	s_wait_dscnt 0x7
	v_mul_f16_e32 v15, v63, v86
	v_mul_f16_e32 v86, v47, v86
	v_fma_f16 v90, v42, v19, -v90
	v_sub_nc_u16 v18, v13, v18
	v_mul_f16_e32 v19, v59, v87
	v_fma_f16 v91, v47, v20, -v15
	v_fmac_f16_e32 v86, v63, v20
	v_mul_f16_e32 v87, v45, v87
	v_and_b32_e32 v15, 0xffff, v18
	s_wait_loadcnt 0x3
	v_lshrrev_b32_e32 v18, 16, v26
	v_fma_f16 v92, v45, v21, -v19
	global_load_b32 v19, v22, s[4:5] offset:320
	v_fmac_f16_e32 v87, v59, v21
	v_mul_u32_u24_e32 v20, 9, v15
	v_mul_f16_e32 v42, v50, v18
	v_lshrrev_b32_e32 v21, 16, v27
	v_mul_f16_e32 v93, v44, v18
	v_lshrrev_b32_e32 v47, 16, v29
	v_lshlrev_b32_e32 v20, 2, v20
	v_fma_f16 v94, v44, v26, -v42
	s_wait_dscnt 0x1
	v_mul_f16_e32 v18, v83, v21
	v_mul_f16_e32 v95, v60, v21
	;; [unrolled: 1-line block ×3, first 2 shown]
	global_load_b128 v[43:46], v20, s[4:5] offset:288
	v_lshrrev_b32_e32 v22, 16, v28
	v_fma_f16 v96, v60, v27, -v18
	v_fmac_f16_e32 v93, v50, v26
	v_fmac_f16_e32 v95, v83, v27
	ds_load_u16 v21, v9 offset:7000
	ds_load_u16 v97, v9 offset:7250
	v_mul_f16_e32 v18, v64, v22
	v_mul_f16_e32 v83, v48, v22
	ds_load_u16 v26, v9 offset:6500
	v_fmac_f16_e32 v99, v49, v29
	s_wait_loadcnt 0x3
	v_lshrrev_b32_e32 v22, 16, v23
	v_fma_f16 v98, v48, v28, -v18
	v_mul_f16_e32 v18, v49, v47
	s_clause 0x1
	global_load_b128 v[47:50], v20, s[4:5] offset:304
	global_load_b32 v101, v20, s[4:5] offset:320
	v_fmac_f16_e32 v83, v64, v28
	v_and_b32_e32 v0, 0xffff, v0
	v_lshlrev_b32_e32 v7, 1, v15
	v_fma_f16 v100, v41, v29, -v18
	v_lshrrev_b32_e32 v18, 16, v30
	s_delay_alu instid0(VALU_DEP_4) | instskip(NEXT) | instid1(VALU_DEP_2)
	v_mul_u32_u24_e32 v0, 0x5dc, v0
	v_mul_f16_e32 v20, v38, v18
	v_mul_f16_e32 v42, v24, v18
	v_lshrrev_b32_e32 v18, 16, v31
	s_delay_alu instid0(VALU_DEP_4) | instskip(NEXT) | instid1(VALU_DEP_4)
	v_add3_u32 v0, 0, v0, v7
	v_fma_f16 v41, v24, v30, -v20
	s_delay_alu instid0(VALU_DEP_4) | instskip(NEXT) | instid1(VALU_DEP_4)
	v_fmac_f16_e32 v42, v38, v30
	v_mul_f16_e32 v20, v52, v18
	v_mul_f16_e32 v103, v39, v18
	v_lshrrev_b32_e32 v18, 16, v32
	v_mul_f16_e32 v38, v62, v22
	s_delay_alu instid0(VALU_DEP_4) | instskip(NEXT) | instid1(VALU_DEP_4)
	v_fma_f16 v102, v39, v31, -v20
	v_fmac_f16_e32 v103, v52, v31
	s_delay_alu instid0(VALU_DEP_4) | instskip(SKIP_2) | instid1(VALU_DEP_3)
	v_mul_f16_e32 v20, v53, v18
	v_mul_f16_e32 v59, v40, v18
	v_lshrrev_b32_e32 v18, 16, v33
	v_fma_f16 v63, v40, v32, -v20
	s_delay_alu instid0(VALU_DEP_3) | instskip(NEXT) | instid1(VALU_DEP_3)
	v_fmac_f16_e32 v59, v53, v32
	v_mul_f16_e32 v20, v56, v18
	v_mul_f16_e32 v105, v51, v18
	ds_load_u16 v18, v9 offset:6750
	v_fma_f16 v104, v51, v33, -v20
	ds_load_u16 v20, v9 offset:4000
	ds_load_u16 v53, v9
	ds_load_u16 v40, v9 offset:250
	v_fmac_f16_e32 v105, v56, v33
	global_wb scope:SCOPE_SE
	s_wait_loadcnt_dscnt 0x0
	s_barrier_signal -1
	s_barrier_wait -1
	global_inv scope:SCOPE_SE
	v_mul_f16_e32 v24, v18, v22
	v_fmac_f16_e32 v38, v18, v23
	s_delay_alu instid0(VALU_DEP_2) | instskip(SKIP_3) | instid1(VALU_DEP_3)
	v_fma_f16 v39, v62, v23, -v24
	v_lshrrev_b32_e32 v27, 16, v34
	v_lshrrev_b32_e32 v22, 16, v35
	;; [unrolled: 1-line block ×3, first 2 shown]
	v_mul_f16_e32 v24, v20, v27
	v_mul_f16_e32 v60, v54, v27
	s_delay_alu instid0(VALU_DEP_4)
	v_mul_f16_e32 v23, v65, v22
	v_mul_f16_e32 v106, v55, v22
	;; [unrolled: 1-line block ×3, first 2 shown]
	v_fma_f16 v64, v54, v34, -v24
	v_lshrrev_b32_e32 v24, 16, v37
	v_fmac_f16_e32 v60, v20, v34
	v_mul_f16_e32 v20, v79, v18
	v_fmac_f16_e32 v106, v65, v35
	v_fmac_f16_e32 v62, v79, v36
	v_mul_f16_e32 v18, v66, v24
	v_lshrrev_b32_e32 v22, 16, v19
	v_fma_f16 v65, v61, v36, -v20
	v_mul_f16_e32 v108, v57, v24
	v_fma_f16 v107, v55, v35, -v23
	v_fma_f16 v79, v57, v37, -v18
	v_mul_f16_e32 v18, v21, v22
	v_mul_f16_e32 v61, v76, v22
	v_fmac_f16_e32 v108, v66, v37
	v_sub_f16_e32 v57, v98, v39
	s_delay_alu instid0(VALU_DEP_4)
	v_fma_f16 v66, v76, v19, -v18
	v_lshrrev_b32_e32 v20, 16, v43
	v_lshrrev_b32_e32 v18, 16, v44
	v_fmac_f16_e32 v61, v21, v19
	v_lshrrev_b32_e32 v21, 16, v45
	v_lshrrev_b32_e32 v23, 16, v46
	v_mul_f16_e32 v22, v68, v20
	v_mul_f16_e32 v19, v58, v20
	;; [unrolled: 1-line block ×5, first 2 shown]
	v_fma_f16 v18, v58, v43, -v22
	v_mul_f16_e32 v22, v70, v21
	v_lshrrev_b32_e32 v24, 16, v47
	v_fma_f16 v33, v72, v44, -v20
	v_mul_f16_e32 v20, v71, v21
	v_mul_f16_e32 v21, v69, v23
	v_fma_f16 v23, v71, v45, -v22
	v_mul_f16_e32 v22, v84, v24
	v_lshrrev_b32_e32 v27, 16, v48
	v_lshrrev_b32_e32 v28, 16, v49
	v_lshrrev_b32_e32 v35, 16, v50
	v_fmac_f16_e32 v29, v77, v44
	v_fma_f16 v32, v67, v46, -v21
	v_mul_f16_e32 v21, v75, v24
	v_fma_f16 v24, v75, v47, -v22
	v_mul_f16_e32 v34, v82, v27
	v_mul_f16_e32 v31, v74, v27
	;; [unrolled: 1-line block ×4, first 2 shown]
	v_lshrrev_b32_e32 v36, 16, v101
	v_add_f16_e32 v28, v92, v96
	v_mul_f16_e32 v37, v26, v35
	v_add_f16_e32 v44, v25, v90
	v_fmac_f16_e32 v19, v68, v43
	v_fmac_f16_e32 v20, v70, v45
	;; [unrolled: 1-line block ×3, first 2 shown]
	v_mul_f16_e32 v35, v80, v35
	v_mul_f16_e32 v43, v97, v36
	v_fma_f16 v51, -0.5, v28, v25
	v_sub_f16_e32 v45, v85, v99
	v_fma_f16 v56, v80, v50, -v37
	v_add_f16_e32 v37, v44, v92
	v_add_f16_e32 v47, v90, v100
	v_fmac_f16_e32 v30, v69, v46
	v_fmac_f16_e32 v35, v26, v50
	v_fma_f16 v28, v78, v101, -v43
	v_fmamk_f16 v50, v45, 0x3b9c, v51
	v_sub_f16_e32 v43, v87, v95
	v_sub_f16_e32 v44, v90, v92
	;; [unrolled: 1-line block ×3, first 2 shown]
	v_mul_f16_e32 v26, v78, v36
	v_add_f16_e32 v36, v37, v96
	v_fmac_f16_e32 v25, -0.5, v47
	v_fmac_f16_e32 v51, 0xbb9c, v45
	v_add_f16_e32 v47, v53, v85
	v_fma_f16 v34, v74, v48, -v34
	v_fmac_f16_e32 v31, v82, v48
	v_fmac_f16_e32 v50, 0x38b4, v43
	v_add_f16_e32 v37, v44, v46
	v_add_f16_e32 v44, v36, v100
	v_fmamk_f16 v52, v43, 0xbb9c, v25
	v_sub_f16_e32 v36, v92, v90
	v_sub_f16_e32 v46, v96, v100
	v_fmac_f16_e32 v51, 0xb8b4, v43
	v_add_f16_e32 v48, v87, v95
	v_fmac_f16_e32 v25, 0x3b9c, v43
	v_add_f16_e32 v43, v47, v87
	v_fmac_f16_e32 v50, 0x34f2, v37
	v_fmac_f16_e32 v52, 0x38b4, v45
	v_add_f16_e32 v36, v36, v46
	v_fma_f16 v54, -0.5, v48, v53
	v_sub_f16_e32 v46, v90, v100
	v_fmac_f16_e32 v51, 0x34f2, v37
	v_fmac_f16_e32 v25, 0xb8b4, v45
	v_add_f16_e32 v37, v43, v95
	v_add_f16_e32 v43, v85, v99
	v_sub_f16_e32 v47, v85, v87
	v_sub_f16_e32 v48, v99, v95
	v_fmac_f16_e32 v52, 0x34f2, v36
	v_fmamk_f16 v67, v46, 0xbb9c, v54
	v_sub_f16_e32 v45, v92, v96
	v_fmac_f16_e32 v25, 0x34f2, v36
	v_fmac_f16_e32 v53, -0.5, v43
	v_add_f16_e32 v68, v37, v99
	v_add_f16_e32 v36, v47, v48
	v_fmac_f16_e32 v54, 0x3b9c, v46
	v_sub_f16_e32 v37, v87, v85
	v_sub_f16_e32 v43, v95, v99
	v_add_f16_e32 v47, v88, v91
	v_fmac_f16_e32 v67, 0xb8b4, v45
	v_fmamk_f16 v69, v45, 0x3b9c, v53
	v_fmac_f16_e32 v54, 0x38b4, v45
	v_add_f16_e32 v37, v37, v43
	v_fmac_f16_e32 v53, 0xbb9c, v45
	v_add_f16_e32 v43, v47, v94
	v_add_f16_e32 v45, v94, v98
	v_fmac_f16_e32 v67, 0x34f2, v36
	v_fmac_f16_e32 v69, 0xb8b4, v46
	v_fmac_f16_e32 v54, 0x34f2, v36
	v_fmac_f16_e32 v53, 0x38b4, v46
	v_add_f16_e32 v36, v43, v98
	v_fma_f16 v45, -0.5, v45, v88
	v_add_f16_e32 v43, v91, v39
	v_sub_f16_e32 v46, v86, v38
	v_fmac_f16_e32 v69, 0x34f2, v37
	v_fmac_f16_e32 v53, 0x34f2, v37
	v_add_f16_e32 v55, v36, v39
	v_sub_f16_e32 v36, v93, v83
	v_fmac_f16_e32 v88, -0.5, v43
	v_fmamk_f16 v43, v46, 0x3b9c, v45
	v_sub_f16_e32 v37, v91, v94
	v_sub_f16_e32 v47, v39, v98
	v_fmac_f16_e32 v45, 0xbb9c, v46
	v_fma_f16 v27, v73, v49, -v27
	v_fmac_f16_e32 v43, 0x38b4, v36
	v_fmac_f16_e32 v22, v81, v49
	v_add_f16_e32 v37, v37, v47
	v_fmac_f16_e32 v45, 0xb8b4, v36
	v_fmamk_f16 v48, v36, 0xbb9c, v88
	v_sub_f16_e32 v49, v94, v91
	v_fmac_f16_e32 v88, 0x3b9c, v36
	v_fmac_f16_e32 v43, 0x34f2, v37
	v_add_f16_e32 v36, v93, v83
	v_fmac_f16_e32 v45, 0x34f2, v37
	v_add_f16_e32 v37, v86, v38
	;; [unrolled: 2-line block ×3, first 2 shown]
	v_fmac_f16_e32 v88, 0xb8b4, v46
	v_fma_f16 v46, -0.5, v36, v89
	v_sub_f16_e32 v36, v91, v39
	v_add_f16_e32 v39, v89, v86
	v_sub_f16_e32 v49, v94, v98
	v_fmac_f16_e32 v89, -0.5, v37
	v_fmac_f16_e32 v48, 0x34f2, v47
	v_fmac_f16_e32 v88, 0x34f2, v47
	v_fmamk_f16 v47, v36, 0xbb9c, v46
	v_sub_f16_e32 v37, v86, v93
	v_sub_f16_e32 v57, v38, v83
	v_fmamk_f16 v58, v49, 0x3b9c, v89
	v_sub_f16_e32 v70, v93, v86
	v_sub_f16_e32 v71, v83, v38
	v_fmac_f16_e32 v47, 0xb8b4, v49
	v_add_f16_e32 v37, v37, v57
	v_fmac_f16_e32 v89, 0xbb9c, v49
	v_fmac_f16_e32 v58, 0xb8b4, v36
	v_add_f16_e32 v57, v70, v71
	v_fmac_f16_e32 v46, 0x3b9c, v36
	v_fmac_f16_e32 v47, 0x34f2, v37
	;; [unrolled: 1-line block ×3, first 2 shown]
	v_add_f16_e32 v39, v39, v93
	v_fmac_f16_e32 v58, 0x34f2, v57
	v_fmac_f16_e32 v46, 0x38b4, v49
	v_mul_f16_e32 v49, 0x3a79, v45
	v_fmac_f16_e32 v89, 0x34f2, v57
	v_mul_f16_e32 v57, 0x38b4, v47
	v_mul_f16_e32 v70, 0x3b9c, v58
	v_fmac_f16_e32 v46, 0x34f2, v37
	v_mul_f16_e32 v74, 0xb8b4, v43
	v_add_f16_e32 v36, v39, v83
	v_mul_f16_e32 v39, 0x34f2, v88
	v_fmac_f16_e32 v57, 0x3a79, v43
	v_fmac_f16_e32 v70, 0x34f2, v48
	v_fma_f16 v73, v46, 0x38b4, -v49
	v_mul_f16_e32 v75, 0xbb9c, v48
	v_mul_f16_e32 v46, 0x3a79, v46
	v_fmac_f16_e32 v74, 0x3a79, v47
	v_add_f16_e32 v71, v36, v38
	v_fma_f16 v72, v89, 0x3b9c, -v39
	v_add_f16_e32 v36, v44, v55
	v_add_f16_e32 v37, v50, v57
	;; [unrolled: 1-line block ×3, first 2 shown]
	v_mul_f16_e32 v48, 0x34f2, v89
	v_add_f16_e32 v43, v51, v73
	v_fmac_f16_e32 v75, 0x34f2, v58
	v_fma_f16 v77, v45, 0xb8b4, -v46
	v_add_f16_e32 v46, v67, v74
	v_sub_f16_e32 v44, v44, v55
	v_sub_f16_e32 v55, v50, v57
	v_add_f16_e32 v50, v104, v107
	v_sub_f16_e32 v57, v52, v70
	v_sub_f16_e32 v58, v51, v73
	v_add_f16_e32 v70, v17, v102
	v_sub_f16_e32 v51, v67, v74
	v_add_f16_e32 v74, v102, v79
	v_add_f16_e32 v39, v25, v72
	v_fma_f16 v76, v88, 0xbb9c, -v48
	v_add_f16_e32 v45, v68, v71
	v_add_f16_e32 v47, v69, v75
	v_sub_f16_e32 v25, v25, v72
	v_fma_f16 v72, -0.5, v50, v17
	v_sub_f16_e32 v73, v103, v108
	v_sub_f16_e32 v50, v68, v71
	;; [unrolled: 1-line block ×3, first 2 shown]
	v_add_f16_e32 v67, v70, v104
	v_sub_f16_e32 v69, v105, v106
	v_sub_f16_e32 v70, v102, v104
	;; [unrolled: 1-line block ×3, first 2 shown]
	v_fmac_f16_e32 v17, -0.5, v74
	v_add_f16_e32 v48, v53, v76
	v_add_f16_e32 v49, v54, v77
	v_fmamk_f16 v68, v73, 0x3b9c, v72
	v_sub_f16_e32 v53, v53, v76
	v_add_f16_e32 v70, v70, v71
	v_sub_f16_e32 v54, v54, v77
	v_fmac_f16_e32 v72, 0xbb9c, v73
	v_fmamk_f16 v71, v69, 0xbb9c, v17
	v_sub_f16_e32 v74, v104, v102
	v_sub_f16_e32 v75, v107, v79
	v_add_f16_e32 v76, v40, v103
	v_add_f16_e32 v77, v105, v106
	v_fmac_f16_e32 v17, 0x3b9c, v69
	v_add_f16_e32 v67, v67, v107
	v_fmac_f16_e32 v68, 0x38b4, v69
	v_fmac_f16_e32 v72, 0xb8b4, v69
	;; [unrolled: 1-line block ×3, first 2 shown]
	v_add_f16_e32 v74, v74, v75
	v_add_f16_e32 v69, v76, v105
	v_fma_f16 v75, -0.5, v77, v40
	v_sub_f16_e32 v76, v102, v79
	v_fmac_f16_e32 v17, 0xb8b4, v73
	v_add_f16_e32 v73, v103, v108
	v_add_f16_e32 v67, v67, v79
	v_fmac_f16_e32 v68, 0x34f2, v70
	v_fmac_f16_e32 v72, 0x34f2, v70
	v_fmamk_f16 v70, v76, 0xbb9c, v75
	v_sub_f16_e32 v77, v104, v107
	v_sub_f16_e32 v78, v103, v105
	;; [unrolled: 1-line block ×3, first 2 shown]
	v_fmac_f16_e32 v40, -0.5, v73
	v_fmac_f16_e32 v75, 0x3b9c, v76
	v_add_f16_e32 v80, v41, v63
	v_fmac_f16_e32 v71, 0x34f2, v74
	v_fmac_f16_e32 v17, 0x34f2, v74
	;; [unrolled: 1-line block ×3, first 2 shown]
	v_add_f16_e32 v73, v78, v79
	v_fmamk_f16 v74, v77, 0x3b9c, v40
	v_sub_f16_e32 v78, v105, v103
	v_sub_f16_e32 v79, v106, v108
	v_fmac_f16_e32 v75, 0x38b4, v77
	v_fmac_f16_e32 v40, 0xbb9c, v77
	v_add_f16_e32 v77, v80, v64
	v_fmac_f16_e32 v70, 0x34f2, v73
	v_fmac_f16_e32 v74, 0xb8b4, v76
	v_add_f16_e32 v78, v78, v79
	v_add_f16_e32 v79, v64, v65
	v_fmac_f16_e32 v75, 0x34f2, v73
	v_fmac_f16_e32 v40, 0x38b4, v76
	v_add_f16_e32 v73, v77, v65
	v_add_f16_e32 v77, v63, v66
	v_fmac_f16_e32 v74, 0x34f2, v78
	v_fma_f16 v76, -0.5, v79, v41
	v_sub_f16_e32 v79, v59, v61
	v_fmac_f16_e32 v40, 0x34f2, v78
	v_sub_f16_e32 v78, v60, v62
	v_fmac_f16_e32 v41, -0.5, v77
	v_sub_f16_e32 v80, v63, v64
	v_fmamk_f16 v77, v79, 0x3b9c, v76
	v_fmac_f16_e32 v76, 0xbb9c, v79
	v_sub_f16_e32 v81, v66, v65
	v_fmamk_f16 v82, v78, 0xbb9c, v41
	v_fmac_f16_e32 v41, 0x3b9c, v78
	v_sub_f16_e32 v83, v64, v63
	v_sub_f16_e32 v84, v65, v66
	v_fmac_f16_e32 v77, 0x38b4, v78
	v_fmac_f16_e32 v76, 0xb8b4, v78
	;; [unrolled: 1-line block ×3, first 2 shown]
	v_add_f16_e32 v78, v60, v62
	v_fmac_f16_e32 v41, 0xb8b4, v79
	v_add_f16_e32 v79, v59, v61
	v_add_f16_e32 v73, v73, v66
	;; [unrolled: 1-line block ×4, first 2 shown]
	v_fma_f16 v78, -0.5, v78, v42
	v_sub_f16_e32 v63, v63, v66
	v_add_f16_e32 v66, v42, v59
	v_sub_f16_e32 v64, v64, v65
	v_fmac_f16_e32 v42, -0.5, v79
	v_fmac_f16_e32 v77, 0x34f2, v80
	v_fmac_f16_e32 v76, 0x34f2, v80
	;; [unrolled: 1-line block ×4, first 2 shown]
	v_fmamk_f16 v65, v63, 0xbb9c, v78
	v_sub_f16_e32 v79, v59, v60
	v_sub_f16_e32 v80, v61, v62
	v_fmamk_f16 v81, v64, 0x3b9c, v42
	v_sub_f16_e32 v59, v60, v59
	v_sub_f16_e32 v83, v62, v61
	v_fmac_f16_e32 v65, 0xb8b4, v64
	v_add_f16_e32 v79, v79, v80
	v_fmac_f16_e32 v42, 0xbb9c, v64
	v_fmac_f16_e32 v81, 0xb8b4, v63
	v_add_f16_e32 v59, v59, v83
	v_add_f16_e32 v60, v66, v60
	v_fmac_f16_e32 v78, 0x3b9c, v63
	v_fmac_f16_e32 v42, 0x38b4, v63
	;; [unrolled: 1-line block ×4, first 2 shown]
	v_add_f16_e32 v60, v60, v62
	v_fmac_f16_e32 v78, 0x38b4, v64
	v_fmac_f16_e32 v42, 0x34f2, v59
	v_mul_f16_e32 v59, 0x38b4, v65
	v_mul_f16_e32 v62, 0x3b9c, v81
	v_mul_f16_e32 v63, 0x34f2, v41
	v_add_f16_e32 v69, v69, v106
	v_add_f16_e32 v60, v60, v61
	v_fmac_f16_e32 v78, 0x34f2, v79
	v_fmac_f16_e32 v59, 0x3a79, v77
	;; [unrolled: 1-line block ×3, first 2 shown]
	v_fma_f16 v61, v42, 0x3b9c, -v63
	v_mul_f16_e32 v63, 0x3a79, v76
	v_mul_f16_e32 v77, 0xb8b4, v77
	;; [unrolled: 1-line block ×3, first 2 shown]
	v_add_f16_e32 v69, v69, v108
	v_mul_f16_e32 v42, 0x34f2, v42
	v_fma_f16 v63, v78, 0x38b4, -v63
	v_mul_f16_e32 v78, 0x3a79, v78
	v_fmac_f16_e32 v77, 0x3a79, v65
	v_fmac_f16_e32 v82, 0x34f2, v81
	v_add_f16_e32 v66, v68, v59
	v_add_f16_e32 v80, v17, v61
	;; [unrolled: 1-line block ×3, first 2 shown]
	v_fma_f16 v41, v41, 0xbb9c, -v42
	v_fma_f16 v42, v76, 0xb8b4, -v78
	v_add_f16_e32 v65, v69, v60
	v_add_f16_e32 v76, v70, v77
	;; [unrolled: 1-line block ×3, first 2 shown]
	v_sub_f16_e32 v59, v68, v59
	v_add_f16_e32 v68, v32, v34
	v_sub_f16_e32 v17, v17, v61
	v_sub_f16_e32 v61, v72, v63
	v_add_f16_e32 v63, v2, v33
	v_sub_f16_e32 v60, v69, v60
	v_sub_f16_e32 v69, v70, v77
	;; [unrolled: 1-line block ×3, first 2 shown]
	v_add_f16_e32 v82, v33, v56
	v_add_f16_e32 v64, v67, v73
	;; [unrolled: 1-line block ×3, first 2 shown]
	v_sub_f16_e32 v67, v67, v73
	v_sub_f16_e32 v62, v71, v62
	v_fma_f16 v68, -0.5, v68, v2
	v_sub_f16_e32 v71, v29, v35
	v_add_f16_e32 v63, v63, v32
	v_sub_f16_e32 v73, v30, v31
	v_sub_f16_e32 v74, v33, v32
	;; [unrolled: 1-line block ×3, first 2 shown]
	v_fmac_f16_e32 v2, -0.5, v82
	v_add_f16_e32 v81, v40, v41
	v_add_f16_e32 v84, v75, v42
	v_fmamk_f16 v72, v71, 0x3b9c, v68
	v_sub_f16_e32 v85, v40, v41
	v_add_f16_e32 v40, v63, v34
	v_add_f16_e32 v41, v74, v77
	v_sub_f16_e32 v63, v75, v42
	v_fmac_f16_e32 v68, 0xbb9c, v71
	v_fmamk_f16 v42, v73, 0xbb9c, v2
	v_add_f16_e32 v77, v16, v29
	v_fmac_f16_e32 v2, 0x3b9c, v73
	v_fmac_f16_e32 v72, 0x38b4, v73
	v_sub_f16_e32 v74, v32, v33
	v_sub_f16_e32 v75, v34, v56
	v_fmac_f16_e32 v68, 0xb8b4, v73
	v_add_f16_e32 v82, v30, v31
	v_fmac_f16_e32 v42, 0x38b4, v71
	v_add_f16_e32 v73, v77, v30
	v_fmac_f16_e32 v2, 0xb8b4, v71
	v_add_f16_e32 v71, v29, v35
	v_fmac_f16_e32 v72, 0x34f2, v41
	v_add_f16_e32 v74, v74, v75
	v_fma_f16 v75, -0.5, v82, v16
	v_sub_f16_e32 v33, v33, v56
	v_fmac_f16_e32 v68, 0x34f2, v41
	v_add_f16_e32 v41, v73, v31
	v_sub_f16_e32 v32, v32, v34
	v_sub_f16_e32 v34, v29, v30
	;; [unrolled: 1-line block ×3, first 2 shown]
	v_fmac_f16_e32 v16, -0.5, v71
	v_sub_f16_e32 v29, v30, v29
	v_sub_f16_e32 v30, v31, v35
	v_add_f16_e32 v31, v18, v23
	v_add_f16_e32 v40, v40, v56
	v_fmamk_f16 v56, v33, 0xbb9c, v75
	v_fmac_f16_e32 v75, 0x3b9c, v33
	v_fmamk_f16 v71, v32, 0x3b9c, v16
	v_add_f16_e32 v29, v29, v30
	v_fmac_f16_e32 v16, 0xbb9c, v32
	v_add_f16_e32 v30, v31, v24
	v_fmac_f16_e32 v26, v97, v101
	v_fmac_f16_e32 v56, 0xb8b4, v32
	v_fmac_f16_e32 v75, 0x38b4, v32
	v_fmac_f16_e32 v71, 0xb8b4, v33
	v_add_f16_e32 v31, v24, v27
	v_fmac_f16_e32 v16, 0x38b4, v33
	v_add_f16_e32 v30, v30, v27
	v_add_f16_e32 v32, v23, v28
	v_fmac_f16_e32 v71, 0x34f2, v29
	v_fma_f16 v31, -0.5, v31, v18
	v_sub_f16_e32 v33, v20, v26
	v_fmac_f16_e32 v16, 0x34f2, v29
	v_add_f16_e32 v29, v30, v28
	v_sub_f16_e32 v30, v21, v22
	v_fmac_f16_e32 v18, -0.5, v32
	v_add_f16_e32 v34, v34, v73
	v_fmamk_f16 v32, v33, 0x3b9c, v31
	v_fmac_f16_e32 v31, 0xbb9c, v33
	v_fmac_f16_e32 v42, 0x34f2, v74
	v_fmamk_f16 v73, v30, 0xbb9c, v18
	v_fmac_f16_e32 v18, 0x3b9c, v30
	v_fmac_f16_e32 v2, 0x34f2, v74
	v_add_f16_e32 v41, v41, v35
	v_fmac_f16_e32 v56, 0x34f2, v34
	v_fmac_f16_e32 v75, 0x34f2, v34
	v_sub_f16_e32 v34, v23, v24
	v_sub_f16_e32 v35, v28, v27
	;; [unrolled: 1-line block ×4, first 2 shown]
	v_fmac_f16_e32 v32, 0x38b4, v30
	v_fmac_f16_e32 v31, 0xb8b4, v30
	;; [unrolled: 1-line block ×3, first 2 shown]
	v_add_f16_e32 v30, v21, v22
	v_fmac_f16_e32 v18, 0xb8b4, v33
	v_add_f16_e32 v33, v20, v26
	v_add_f16_e32 v34, v34, v35
	;; [unrolled: 1-line block ×3, first 2 shown]
	v_fma_f16 v30, -0.5, v30, v19
	v_sub_f16_e32 v23, v23, v28
	v_add_f16_e32 v28, v19, v20
	v_sub_f16_e32 v24, v24, v27
	v_fmac_f16_e32 v19, -0.5, v33
	v_fmac_f16_e32 v32, 0x34f2, v34
	v_fmac_f16_e32 v31, 0x34f2, v34
	;; [unrolled: 1-line block ×4, first 2 shown]
	v_fmamk_f16 v27, v23, 0xbb9c, v30
	v_sub_f16_e32 v33, v20, v21
	v_sub_f16_e32 v34, v26, v22
	v_fmamk_f16 v35, v24, 0x3b9c, v19
	v_sub_f16_e32 v20, v21, v20
	v_sub_f16_e32 v74, v22, v26
	v_fmac_f16_e32 v19, 0xbb9c, v24
	v_fmac_f16_e32 v27, 0xb8b4, v24
	v_add_f16_e32 v33, v33, v34
	v_fmac_f16_e32 v35, 0xb8b4, v23
	v_add_f16_e32 v20, v20, v74
	v_fmac_f16_e32 v19, 0x38b4, v23
	v_fmac_f16_e32 v30, 0x3b9c, v23
	;; [unrolled: 1-line block ×3, first 2 shown]
	v_mul_f16_e32 v23, 0x34f2, v18
	v_add_f16_e32 v21, v28, v21
	v_fmac_f16_e32 v19, 0x34f2, v20
	v_fmac_f16_e32 v35, 0x34f2, v20
	;; [unrolled: 1-line block ×3, first 2 shown]
	v_mul_f16_e32 v20, 0x38b4, v27
	v_add_f16_e32 v21, v21, v22
	v_fma_f16 v23, v19, 0x3b9c, -v23
	v_mul_f16_e32 v19, 0x34f2, v19
	v_mul_f16_e32 v22, 0x3b9c, v35
	v_fmac_f16_e32 v30, 0x34f2, v33
	v_fmac_f16_e32 v20, 0x3a79, v32
	v_mul_f16_e32 v24, 0x3a79, v31
	v_fma_f16 v18, v18, 0xbb9c, -v19
	v_fmac_f16_e32 v22, 0x34f2, v73
	v_mul_f16_e32 v32, 0xb8b4, v32
	v_add_f16_e32 v28, v72, v20
	v_fma_f16 v24, v30, 0x38b4, -v24
	v_mul_f16_e32 v73, 0xbb9c, v73
	v_mul_f16_e32 v30, 0x3a79, v30
	v_add_f16_e32 v87, v16, v18
	v_sub_f16_e32 v20, v72, v20
	v_sub_f16_e32 v72, v16, v18
	s_wait_alu 0xf1ff
	v_cndmask_b32_e64 v16, 0, 0x5dc, s0
	v_add_f16_e32 v21, v21, v26
	v_fmac_f16_e32 v32, 0x3a79, v27
	v_fmac_f16_e32 v73, 0x34f2, v35
	v_fma_f16 v19, v31, 0xb8b4, -v30
	v_add3_u32 v3, 0, v16, v3
	v_add_f16_e32 v26, v40, v29
	v_add_f16_e32 v33, v42, v22
	;; [unrolled: 1-line block ×3, first 2 shown]
	v_sub_f16_e32 v27, v40, v29
	v_sub_f16_e32 v22, v42, v22
	;; [unrolled: 1-line block ×4, first 2 shown]
	v_add_f16_e32 v74, v68, v24
	v_add_f16_e32 v77, v41, v21
	;; [unrolled: 1-line block ×5, first 2 shown]
	v_sub_f16_e32 v68, v41, v21
	v_sub_f16_e32 v56, v56, v32
	;; [unrolled: 1-line block ×4, first 2 shown]
	ds_store_b16 v3, v36
	ds_store_b16 v3, v37 offset:150
	ds_store_b16 v3, v38 offset:300
	ds_store_b16 v3, v39 offset:450
	ds_store_b16 v3, v43 offset:600
	ds_store_b16 v3, v44 offset:750
	ds_store_b16 v3, v55 offset:900
	ds_store_b16 v3, v57 offset:1050
	ds_store_b16 v3, v25 offset:1200
	ds_store_b16 v3, v58 offset:1350
	ds_store_b16 v1, v64
	ds_store_b16 v1, v66 offset:150
	ds_store_b16 v1, v79 offset:300
	ds_store_b16 v1, v80 offset:450
	ds_store_b16 v1, v83 offset:600
	ds_store_b16 v1, v67 offset:750
	ds_store_b16 v1, v59 offset:900
	ds_store_b16 v1, v62 offset:1050
	ds_store_b16 v1, v17 offset:1200
	ds_store_b16 v1, v61 offset:1350
	;; [unrolled: 10-line block ×3, first 2 shown]
	global_wb scope:SCOPE_SE
	s_wait_dscnt 0x0
	s_barrier_signal -1
	s_barrier_wait -1
	global_inv scope:SCOPE_SE
	ds_load_u16 v21, v9 offset:1750
	ds_load_u16 v22, v9 offset:3250
	ds_load_u16 v29, v9 offset:3500
	ds_load_u16 v34, v9 offset:3750
	ds_load_u16 v15, v9
	ds_load_u16 v20, v9 offset:250
	ds_load_u16 v25, v9 offset:500
	;; [unrolled: 1-line block ×25, first 2 shown]
	global_wb scope:SCOPE_SE
	s_wait_dscnt 0x0
	s_barrier_signal -1
	s_barrier_wait -1
	global_inv scope:SCOPE_SE
	ds_store_b16 v3, v45
	ds_store_b16 v3, v46 offset:150
	ds_store_b16 v3, v47 offset:300
	ds_store_b16 v3, v48 offset:450
	ds_store_b16 v3, v49 offset:600
	ds_store_b16 v3, v50 offset:750
	ds_store_b16 v3, v51 offset:900
	ds_store_b16 v3, v52 offset:1050
	ds_store_b16 v3, v53 offset:1200
	ds_store_b16 v3, v54 offset:1350
	ds_store_b16 v1, v65
	ds_store_b16 v1, v76 offset:150
	ds_store_b16 v1, v78 offset:300
	ds_store_b16 v1, v81 offset:450
	ds_store_b16 v1, v84 offset:600
	ds_store_b16 v1, v60 offset:750
	ds_store_b16 v1, v69 offset:900
	ds_store_b16 v1, v70 offset:1050
	ds_store_b16 v1, v85 offset:1200
	ds_store_b16 v1, v63 offset:1350
	;; [unrolled: 10-line block ×3, first 2 shown]
	global_wb scope:SCOPE_SE
	s_wait_dscnt 0x0
	s_barrier_signal -1
	s_barrier_wait -1
	global_inv scope:SCOPE_SE
	s_and_saveexec_b32 s0, vcc_lo
	s_cbranch_execz .LBB0_13
; %bb.12:
	v_lshlrev_b32_e32 v7, 2, v11
	v_mul_hi_u32 v11, 0x57619f1, v11
	s_delay_alu instid0(VALU_DEP_2) | instskip(SKIP_2) | instid1(VALU_DEP_2)
	v_lshlrev_b64_e32 v[0:1], 2, v[7:8]
	v_lshlrev_b32_e32 v7, 2, v10
	v_mul_hi_u32 v10, 0x57619f1, v10
	v_lshlrev_b64_e32 v[45:46], 2, v[7:8]
	s_delay_alu instid0(VALU_DEP_4) | instskip(SKIP_3) | instid1(VALU_DEP_4)
	v_add_co_u32 v0, vcc_lo, s4, v0
	s_wait_alu 0xfffd
	v_add_co_ci_u32_e32 v1, vcc_lo, s5, v1, vcc_lo
	v_lshlrev_b32_e32 v7, 2, v14
	v_add_co_u32 v45, vcc_lo, s4, v45
	global_load_b128 v[0:3], v[0:1], off offset:2988
	s_wait_alu 0xfffd
	v_add_co_ci_u32_e32 v46, vcc_lo, s5, v46, vcc_lo
	v_lshlrev_b64_e32 v[49:50], 2, v[7:8]
	v_lshlrev_b32_e32 v7, 2, v13
	global_load_b128 v[45:48], v[45:46], off offset:2988
	v_lshlrev_b64_e32 v[13:14], 2, v[7:8]
	v_add_co_u32 v49, vcc_lo, s4, v49
	s_wait_alu 0xfffd
	v_add_co_ci_u32_e32 v50, vcc_lo, s5, v50, vcc_lo
	s_delay_alu instid0(VALU_DEP_3)
	v_add_co_u32 v13, vcc_lo, s4, v13
	global_load_b128 v[49:52], v[49:50], off offset:2988
	s_wait_alu 0xfffd
	v_add_co_ci_u32_e32 v14, vcc_lo, s5, v14, vcc_lo
	global_load_b128 v[53:56], v[13:14], off offset:2988
	ds_load_u16 v7, v9 offset:4250
	ds_load_u16 v13, v9 offset:2750
	;; [unrolled: 1-line block ×19, first 2 shown]
	s_wait_loadcnt 0x3
	v_lshrrev_b32_e32 v71, 16, v0
	s_wait_dscnt 0x11
	v_mul_f16_e32 v76, v0, v13
	v_lshrrev_b32_e32 v72, 16, v1
	v_lshrrev_b32_e32 v73, 16, v2
	;; [unrolled: 1-line block ×3, first 2 shown]
	v_mul_f16_e32 v13, v71, v13
	s_wait_loadcnt 0x2
	v_lshrrev_b32_e32 v79, 16, v45
	v_mul_f16_e32 v75, v1, v7
	s_wait_dscnt 0x10
	v_mul_f16_e32 v77, v2, v14
	s_wait_dscnt 0xf
	v_mul_f16_e32 v78, v3, v57
	v_fma_f16 v13, v41, v0, -v13
	s_wait_dscnt 0x8
	v_mul_f16_e32 v0, v79, v64
	v_mul_f16_e32 v57, v74, v57
	;; [unrolled: 1-line block ×4, first 2 shown]
	v_lshrrev_b32_e32 v80, 16, v46
	v_fma_f16 v90, v37, v45, -v0
	ds_load_u16 v0, v9 offset:5000
	v_lshrrev_b32_e32 v81, 16, v47
	v_lshrrev_b32_e32 v82, 16, v48
	v_mul_f16_e32 v83, v46, v59
	v_mul_f16_e32 v84, v45, v64
	s_wait_dscnt 0x6
	v_mul_f16_e32 v87, v48, v67
	v_fma_f16 v57, v44, v3, -v57
	v_fma_f16 v88, v43, v1, -v7
	;; [unrolled: 1-line block ×3, first 2 shown]
	v_mul_f16_e32 v1, v82, v67
	v_mul_f16_e32 v2, v80, v59
	s_wait_dscnt 0x3
	v_mul_f16_e32 v3, v81, v70
	s_wait_loadcnt 0x1
	v_lshrrev_b32_e32 v14, 16, v49
	v_lshrrev_b32_e32 v59, 16, v50
	;; [unrolled: 1-line block ×4, first 2 shown]
	v_mul_f16_e32 v86, v47, v70
	v_mul_f16_e32 v70, v50, v60
	v_fma_f16 v91, v40, v48, -v1
	v_fma_f16 v92, v38, v46, -v2
	v_fma_f16 v93, v39, v47, -v3
	v_mul_f16_e32 v94, v49, v65
	v_mul_f16_e32 v96, v52, v68
	;; [unrolled: 1-line block ×5, first 2 shown]
	s_wait_dscnt 0x2
	v_mul_f16_e32 v7, v64, v85
	s_wait_loadcnt 0x0
	v_lshrrev_b32_e32 v60, 16, v53
	v_lshrrev_b32_e32 v65, 16, v54
	;; [unrolled: 1-line block ×3, first 2 shown]
	v_mul_f16_e32 v95, v51, v85
	v_fma_f16 v49, v33, v49, -v1
	v_fma_f16 v52, v36, v52, -v2
	;; [unrolled: 1-line block ×3, first 2 shown]
	v_mul_f16_e32 v85, v54, v61
	v_mul_f16_e32 v97, v53, v66
	;; [unrolled: 1-line block ×4, first 2 shown]
	ds_load_u16 v61, v9 offset:4750
	s_wait_dscnt 0x1
	v_mul_f16_e32 v66, v55, v0
	v_mul_f16_e32 v0, v68, v0
	v_lshlrev_b32_e32 v7, 2, v12
	v_fma_f16 v53, v30, v53, -v1
	v_lshrrev_b32_e32 v98, 16, v56
	v_fma_f16 v50, v34, v50, -v3
	v_fma_f16 v55, v28, v55, -v0
	v_lshlrev_b64_e32 v[0:1], 2, v[7:8]
	v_lshlrev_b32_e32 v7, 2, v6
	v_mul_f16_e32 v3, v98, v69
	v_mul_f16_e32 v69, v56, v69
	v_fma_f16 v54, v29, v54, -v2
	v_fmac_f16_e32 v75, v43, v72
	v_add_co_u32 v0, vcc_lo, s4, v0
	s_wait_alu 0xfffd
	v_add_co_ci_u32_e32 v1, vcc_lo, s5, v1, vcc_lo
	v_fma_f16 v56, v31, v56, -v3
	v_lshlrev_b64_e32 v[2:3], 2, v[7:8]
	v_fmac_f16_e32 v76, v41, v71
	global_load_b128 v[45:48], v[0:1], off offset:2988
	v_fmac_f16_e32 v77, v42, v73
	v_fmac_f16_e32 v78, v44, v74
	;; [unrolled: 1-line block ×3, first 2 shown]
	v_add_co_u32 v2, vcc_lo, s4, v2
	s_wait_alu 0xfffd
	v_add_co_ci_u32_e32 v3, vcc_lo, s5, v3, vcc_lo
	v_fmac_f16_e32 v70, v34, v59
	v_fmac_f16_e32 v83, v38, v80
	;; [unrolled: 1-line block ×3, first 2 shown]
	global_load_b128 v[41:44], v[2:3], off offset:2988
	ds_load_u16 v1, v9 offset:1250
	ds_load_u16 v7, v9 offset:1750
	;; [unrolled: 1-line block ×4, first 2 shown]
	v_sub_f16_e32 v0, v75, v76
	v_sub_f16_e32 v2, v77, v78
	v_add_f16_e32 v3, v76, v78
	v_fmac_f16_e32 v87, v40, v82
	v_sub_f16_e32 v12, v76, v75
	v_sub_f16_e32 v38, v78, v77
	v_add_f16_e32 v39, v0, v2
	v_add_f16_e32 v2, v75, v77
	v_fmac_f16_e32 v94, v33, v14
	v_add_f16_e32 v14, v13, v57
	v_add_f16_e32 v38, v12, v38
	v_sub_f16_e32 v12, v89, v57
	v_fmac_f16_e32 v96, v36, v67
	v_add_f16_e32 v36, v88, v89
	v_fmac_f16_e32 v97, v30, v60
	ds_load_u16 v30, v9 offset:750
	v_sub_f16_e32 v72, v13, v57
	s_wait_dscnt 0x4
	v_add_f16_e32 v40, v76, v1
	v_fma_f16 v0, -0.5, v3, v1
	v_fma_f16 v1, -0.5, v2, v1
	v_sub_f16_e32 v3, v88, v13
	v_fmac_f16_e32 v95, v35, v64
	v_add_f16_e32 v2, v75, v40
	v_sub_f16_e32 v40, v88, v89
	v_sub_f16_e32 v33, v13, v88
	v_add_f16_e32 v13, v32, v13
	v_fmac_f16_e32 v85, v29, v65
	v_sub_f16_e32 v29, v83, v84
	v_sub_f16_e32 v64, v86, v87
	v_add_f16_e32 v65, v77, v2
	v_add_f16_e32 v67, v84, v87
	;; [unrolled: 1-line block ×3, first 2 shown]
	v_fma_f16 v2, -0.5, v14, v32
	v_fma_f16 v3, -0.5, v36, v32
	v_add_f16_e32 v32, v83, v86
	s_wait_dscnt 0x1
	v_add_f16_e32 v36, v84, v34
	v_sub_f16_e32 v35, v57, v89
	v_add_f16_e32 v60, v88, v13
	v_add_f16_e32 v64, v29, v64
	v_fmamk_f16 v12, v40, 0xbb9c, v0
	v_fmac_f16_e32 v0, 0x3b9c, v40
	v_fmamk_f16 v13, v72, 0x3b9c, v1
	v_fmac_f16_e32 v1, 0xbb9c, v72
	v_fma_f16 v14, -0.5, v67, v34
	v_fma_f16 v29, -0.5, v32, v34
	v_add_f16_e32 v34, v83, v36
	v_sub_f16_e32 v36, v92, v90
	v_fmac_f16_e32 v66, v28, v68
	v_sub_f16_e32 v28, v93, v91
	v_fmac_f16_e32 v69, v31, v98
	v_sub_f16_e32 v31, v90, v92
	v_sub_f16_e32 v68, v91, v93
	;; [unrolled: 1-line block ×5, first 2 shown]
	v_add_f16_e32 v33, v33, v35
	v_sub_f16_e32 v35, v87, v86
	v_add_f16_e32 v67, v90, v91
	v_fmac_f16_e32 v12, 0x38b4, v72
	v_fmac_f16_e32 v0, 0xb8b4, v72
	v_add_f16_e32 v72, v92, v93
	v_fmac_f16_e32 v13, 0x38b4, v40
	v_fmac_f16_e32 v1, 0xb8b4, v40
	v_sub_f16_e32 v40, v70, v94
	v_add_f16_e32 v65, v78, v65
	v_sub_f16_e32 v77, v95, v96
	v_add_f16_e32 v78, v94, v96
	;; [unrolled: 2-line block ×4, first 2 shown]
	v_add_f16_e32 v68, v70, v95
	v_add_f16_e32 v35, v74, v35
	;; [unrolled: 1-line block ×4, first 2 shown]
	v_fma_f16 v67, -0.5, v67, v27
	v_fma_f16 v27, -0.5, v72, v27
	ds_load_u16 v72, v9 offset:500
	v_add_f16_e32 v40, v40, v77
	s_wait_dscnt 0x1
	v_add_f16_e32 v77, v94, v30
	v_add_f16_e32 v36, v79, v36
	v_fma_f16 v78, -0.5, v78, v30
	v_fma_f16 v30, -0.5, v68, v30
	v_fmac_f16_e32 v12, 0x34f2, v39
	v_fmac_f16_e32 v0, 0x34f2, v39
	v_fmamk_f16 v39, v71, 0xbb9c, v3
	v_fmac_f16_e32 v3, 0x3b9c, v71
	v_sub_f16_e32 v32, v90, v91
	v_sub_f16_e32 v80, v92, v93
	v_add_f16_e32 v57, v60, v57
	v_fmac_f16_e32 v39, 0xb8b4, v59
	v_fmac_f16_e32 v3, 0x38b4, v59
	v_sub_f16_e32 v60, v51, v52
	v_sub_f16_e32 v75, v83, v86
	v_fmac_f16_e32 v13, 0x34f2, v38
	v_fmac_f16_e32 v1, 0x34f2, v38
	v_fmamk_f16 v38, v80, 0xbb9c, v14
	v_fmac_f16_e32 v14, 0x3b9c, v80
	v_sub_f16_e32 v81, v85, v97
	v_sub_f16_e32 v82, v66, v69
	;; [unrolled: 1-line block ×4, first 2 shown]
	v_fmac_f16_e32 v38, 0x38b4, v32
	v_fmac_f16_e32 v14, 0xb8b4, v32
	v_add_f16_e32 v81, v81, v82
	v_add_f16_e32 v82, v49, v52
	v_fmac_f16_e32 v39, 0x34f2, v33
	v_fmac_f16_e32 v3, 0x34f2, v33
	v_add_f16_e32 v33, v85, v66
	v_fmac_f16_e32 v38, 0x34f2, v64
	v_fma_f16 v82, -0.5, v82, v26
	v_fmac_f16_e32 v14, 0x34f2, v64
	v_fmamk_f16 v64, v75, 0x3b9c, v67
	v_fmac_f16_e32 v67, 0xbb9c, v75
	v_add_f16_e32 v34, v86, v34
	v_add_f16_e32 v77, v70, v77
	v_sub_f16_e32 v70, v70, v95
	v_fmac_f16_e32 v64, 0xb8b4, v76
	v_fmac_f16_e32 v67, 0x38b4, v76
	v_add_f16_e32 v34, v87, v34
	v_sub_f16_e32 v84, v94, v96
	v_sub_f16_e32 v86, v54, v53
	;; [unrolled: 1-line block ×3, first 2 shown]
	v_fmac_f16_e32 v64, 0x34f2, v28
	v_fmac_f16_e32 v67, 0x34f2, v28
	v_sub_f16_e32 v88, v97, v69
	v_add_co_u32 v4, vcc_lo, s8, v4
	s_wait_alu 0xfffd
	v_add_co_ci_u32_e32 v5, vcc_lo, s9, v5, vcc_lo
	v_add_f16_e32 v77, v95, v77
	v_add_f16_e32 v74, v92, v74
	v_pack_b32_f16 v1, v3, v1
	v_pack_b32_f16 v14, v67, v14
	;; [unrolled: 1-line block ×3, first 2 shown]
	v_add_f16_e32 v77, v96, v77
	v_add_f16_e32 v74, v74, v93
	s_delay_alu instid0(VALU_DEP_1) | instskip(SKIP_4) | instid1(VALU_DEP_3)
	v_add_f16_e32 v74, v74, v91
	s_wait_loadcnt 0x1
	v_lshrrev_b32_e32 v79, 16, v46
	v_mul_f16_e32 v68, v46, v62
	v_lshrrev_b32_e32 v28, 16, v47
	v_mul_f16_e32 v62, v79, v62
	s_delay_alu instid0(VALU_DEP_3) | instskip(SKIP_4) | instid1(VALU_DEP_4)
	v_fmac_f16_e32 v68, v22, v79
	v_fmamk_f16 v79, v59, 0x3b9c, v2
	v_fmac_f16_e32 v2, 0xbb9c, v59
	v_sub_f16_e32 v59, v50, v49
	v_fma_f16 v22, v22, v46, -v62
	v_fmac_f16_e32 v79, 0xb8b4, v71
	s_delay_alu instid0(VALU_DEP_4)
	v_fmac_f16_e32 v2, 0x38b4, v71
	v_fmamk_f16 v71, v32, 0x3b9c, v29
	v_fmac_f16_e32 v29, 0xbb9c, v32
	v_add_f16_e32 v59, v59, v60
	v_sub_f16_e32 v60, v69, v66
	v_sub_f16_e32 v32, v49, v50
	v_fmac_f16_e32 v71, 0x38b4, v80
	v_fmac_f16_e32 v29, 0xb8b4, v80
	v_sub_f16_e32 v80, v52, v51
	v_add_f16_e32 v60, v83, v60
	v_add_f16_e32 v83, v50, v51
	v_fmac_f16_e32 v79, 0x34f2, v73
	v_fmac_f16_e32 v2, 0x34f2, v73
	v_add_f16_e32 v73, v97, v69
	v_add_f16_e32 v32, v32, v80
	ds_load_u16 v80, v9 offset:250
	v_fma_f16 v83, -0.5, v83, v26
	v_add_f16_e32 v26, v26, v49
	s_wait_dscnt 0x1
	v_fma_f16 v73, -0.5, v73, v72
	v_fma_f16 v33, -0.5, v33, v72
	v_add_f16_e32 v72, v97, v72
	v_sub_f16_e32 v49, v49, v52
	v_fmac_f16_e32 v71, 0x34f2, v35
	v_fmac_f16_e32 v29, 0x34f2, v35
	v_fmamk_f16 v35, v76, 0xbb9c, v27
	v_fmac_f16_e32 v27, 0x3b9c, v76
	v_add_f16_e32 v26, v50, v26
	v_sub_f16_e32 v50, v50, v51
	v_add_f16_e32 v72, v85, v72
	v_fmac_f16_e32 v35, 0xb8b4, v75
	v_fmac_f16_e32 v27, 0x38b4, v75
	v_fmamk_f16 v75, v49, 0x3b9c, v30
	v_fmac_f16_e32 v30, 0xbb9c, v49
	v_sub_f16_e32 v85, v85, v66
	v_fmamk_f16 v76, v50, 0xbb9c, v78
	v_fmac_f16_e32 v78, 0x3b9c, v50
	v_fmac_f16_e32 v75, 0x38b4, v50
	v_fmac_f16_e32 v30, 0xb8b4, v50
	v_add_f16_e32 v50, v53, v56
	v_add_f16_e32 v66, v66, v72
	;; [unrolled: 1-line block ×3, first 2 shown]
	v_fmac_f16_e32 v76, 0x38b4, v49
	v_fmac_f16_e32 v78, 0xb8b4, v49
	v_add_f16_e32 v26, v26, v51
	v_fma_f16 v50, -0.5, v50, v25
	v_fma_f16 v72, -0.5, v72, v25
	v_add_f16_e32 v25, v25, v53
	v_sub_f16_e32 v53, v53, v56
	v_sub_f16_e32 v51, v56, v55
	v_fmac_f16_e32 v76, 0x34f2, v40
	v_fmac_f16_e32 v78, 0x34f2, v40
	v_add_f16_e32 v25, v54, v25
	v_sub_f16_e32 v54, v54, v55
	v_fmamk_f16 v40, v70, 0x3b9c, v82
	v_fmac_f16_e32 v82, 0xbb9c, v70
	v_fmac_f16_e32 v75, 0x34f2, v36
	;; [unrolled: 1-line block ×3, first 2 shown]
	v_fmamk_f16 v36, v84, 0xbb9c, v83
	v_fmac_f16_e32 v83, 0x3b9c, v84
	v_add_f16_e32 v26, v26, v52
	v_fmamk_f16 v52, v53, 0x3b9c, v33
	v_fmac_f16_e32 v33, 0xbb9c, v53
	v_add_f16_e32 v51, v87, v51
	v_lshrrev_b32_e32 v87, 16, v45
	v_fmac_f16_e32 v35, 0x34f2, v31
	v_fmac_f16_e32 v27, 0x34f2, v31
	v_lshrrev_b32_e32 v31, 16, v48
	v_fmac_f16_e32 v40, 0xb8b4, v84
	v_fmac_f16_e32 v82, 0x38b4, v84
	v_mul_f16_e32 v84, v45, v7
	v_fmac_f16_e32 v36, 0xb8b4, v70
	v_fmac_f16_e32 v83, 0x38b4, v70
	v_fmamk_f16 v70, v54, 0xbb9c, v73
	v_fmac_f16_e32 v73, 0x3b9c, v54
	v_fmac_f16_e32 v52, 0x38b4, v54
	;; [unrolled: 1-line block ×3, first 2 shown]
	v_mul_f16_e32 v54, v48, v99
	v_fmac_f16_e32 v70, 0x38b4, v53
	v_fmac_f16_e32 v73, 0xb8b4, v53
	v_mul_f16_e32 v53, v47, v61
	v_fmac_f16_e32 v84, v21, v87
	v_fmac_f16_e32 v54, v24, v31
	;; [unrolled: 1-line block ×5, first 2 shown]
	v_mul_f16_e32 v28, v28, v61
	v_mul_f16_e32 v7, v87, v7
	;; [unrolled: 1-line block ×3, first 2 shown]
	v_add_f16_e32 v32, v84, v54
	v_sub_f16_e32 v49, v55, v56
	v_add_f16_e32 v66, v69, v66
	v_fmamk_f16 v69, v85, 0x3b9c, v50
	v_fmac_f16_e32 v50, 0xbb9c, v85
	v_fma_f16 v23, v23, v47, -v28
	v_fma_f16 v7, v21, v45, -v7
	;; [unrolled: 1-line block ×3, first 2 shown]
	s_wait_dscnt 0x0
	v_fma_f16 v24, -0.5, v32, v80
	v_sub_f16_e32 v31, v68, v84
	v_sub_f16_e32 v32, v53, v54
	v_add_f16_e32 v45, v68, v53
	v_add_f16_e32 v49, v86, v49
	v_fmac_f16_e32 v69, 0xb8b4, v88
	v_fmac_f16_e32 v50, 0x38b4, v88
	v_sub_f16_e32 v28, v22, v23
	v_sub_f16_e32 v46, v7, v21
	v_add_f16_e32 v31, v31, v32
	v_fma_f16 v32, -0.5, v45, v80
	v_fmac_f16_e32 v69, 0x34f2, v49
	v_fmac_f16_e32 v50, 0x34f2, v49
	v_fmamk_f16 v47, v28, 0xbb9c, v24
	v_fmac_f16_e32 v24, 0x3b9c, v28
	v_sub_f16_e32 v45, v84, v68
	v_sub_f16_e32 v48, v54, v53
	v_fmamk_f16 v49, v46, 0x3b9c, v32
	v_fmac_f16_e32 v32, 0xbb9c, v46
	v_add_f16_e32 v25, v25, v55
	v_fmamk_f16 v55, v88, 0xbb9c, v72
	v_fmac_f16_e32 v72, 0x3b9c, v88
	v_fmac_f16_e32 v47, 0x38b4, v46
	;; [unrolled: 1-line block ×3, first 2 shown]
	v_add_f16_e32 v46, v84, v80
	v_add_f16_e32 v45, v45, v48
	v_fmac_f16_e32 v49, 0x38b4, v28
	v_fmac_f16_e32 v32, 0xb8b4, v28
	ds_load_u16 v86, v9 offset:6000
	v_fmac_f16_e32 v55, 0xb8b4, v85
	v_fmac_f16_e32 v72, 0x38b4, v85
	;; [unrolled: 1-line block ×3, first 2 shown]
	v_add_f16_e32 v28, v68, v46
	v_fmac_f16_e32 v24, 0x34f2, v31
	v_fmac_f16_e32 v49, 0x34f2, v45
	v_add_f16_e32 v31, v7, v21
	v_fmac_f16_e32 v32, 0x34f2, v45
	v_sub_f16_e32 v45, v22, v7
	v_sub_f16_e32 v46, v23, v21
	v_add_f16_e32 v48, v22, v23
	v_fmac_f16_e32 v55, 0x34f2, v51
	v_fmac_f16_e32 v72, 0x34f2, v51
	v_add_f16_e32 v28, v53, v28
	v_fma_f16 v31, -0.5, v31, v20
	v_sub_f16_e32 v51, v68, v53
	v_add_f16_e32 v45, v45, v46
	v_sub_f16_e32 v46, v84, v54
	v_fma_f16 v48, -0.5, v48, v20
	v_fmac_f16_e32 v40, 0x34f2, v59
	v_fmac_f16_e32 v82, 0x34f2, v59
	v_add_f16_e32 v25, v25, v56
	v_add_f16_e32 v28, v54, v28
	v_fmamk_f16 v53, v51, 0x3b9c, v31
	v_fmac_f16_e32 v31, 0xbb9c, v51
	v_sub_f16_e32 v54, v7, v22
	v_sub_f16_e32 v56, v21, v23
	v_fmamk_f16 v59, v46, 0xbb9c, v48
	v_fmac_f16_e32 v48, 0x3b9c, v46
	ds_load_u16 v9, v9
	v_fmac_f16_e32 v53, 0xb8b4, v46
	v_fmac_f16_e32 v31, 0x38b4, v46
	v_add_f16_e32 v46, v54, v56
	v_fmac_f16_e32 v59, 0xb8b4, v51
	v_fmac_f16_e32 v48, 0x38b4, v51
	v_add_f16_e32 v7, v20, v7
	v_fmac_f16_e32 v53, 0x34f2, v45
	v_fmac_f16_e32 v31, 0x34f2, v45
	;; [unrolled: 1-line block ×4, first 2 shown]
	v_add_f16_e32 v7, v22, v7
	s_wait_loadcnt 0x0
	v_lshrrev_b32_e32 v20, 16, v41
	v_lshrrev_b32_e32 v22, 16, v42
	v_mul_f16_e32 v45, v42, v63
	v_mul_f16_e32 v46, v41, v37
	v_lshrrev_b32_e32 v51, 16, v44
	s_wait_dscnt 0x1
	v_mul_f16_e32 v54, v44, v86
	v_lshrrev_b32_e32 v56, 16, v43
	v_fmac_f16_e32 v52, 0x34f2, v60
	v_fmac_f16_e32 v33, 0x34f2, v60
	;; [unrolled: 1-line block ×4, first 2 shown]
	v_mul_f16_e32 v60, v43, v58
	v_fmac_f16_e32 v54, v19, v51
	v_mul_f16_e32 v22, v22, v63
	v_mul_f16_e32 v58, v56, v58
	;; [unrolled: 1-line block ×4, first 2 shown]
	v_add_f16_e32 v51, v46, v54
	v_fma_f16 v17, v17, v42, -v22
	v_fma_f16 v22, v18, v43, -v58
	v_fmac_f16_e32 v60, v18, v56
	v_fma_f16 v16, v16, v41, -v20
	v_fma_f16 v18, v19, v44, -v37
	s_wait_dscnt 0x0
	v_fma_f16 v19, -0.5, v51, v9
	v_sub_f16_e32 v20, v17, v22
	v_add_f16_e32 v7, v7, v23
	v_sub_f16_e32 v23, v45, v46
	v_sub_f16_e32 v37, v60, v54
	;; [unrolled: 1-line block ×3, first 2 shown]
	v_fmamk_f16 v42, v20, 0xbb9c, v19
	v_add_f16_e32 v43, v45, v60
	v_fmac_f16_e32 v19, 0x3b9c, v20
	v_add_f16_e32 v21, v7, v21
	v_add_f16_e32 v7, v23, v37
	v_fmac_f16_e32 v42, 0x38b4, v41
	v_fma_f16 v23, -0.5, v43, v9
	v_fmac_f16_e32 v19, 0xb8b4, v41
	v_sub_f16_e32 v37, v46, v45
	v_sub_f16_e32 v43, v54, v60
	v_add_f16_e32 v9, v46, v9
	v_fmac_f16_e32 v42, 0x34f2, v7
	v_fmamk_f16 v44, v41, 0x3b9c, v23
	v_fmac_f16_e32 v19, 0x34f2, v7
	v_add_f16_e32 v7, v37, v43
	v_sub_f16_e32 v43, v45, v60
	v_fmac_f16_e32 v23, 0xbb9c, v41
	v_add_f16_e32 v9, v45, v9
	v_sub_f16_e32 v41, v17, v16
	v_sub_f16_e32 v45, v22, v18
	v_add_f16_e32 v51, v16, v18
	v_fmac_f16_e32 v44, 0x38b4, v20
	v_fmac_f16_e32 v23, 0xb8b4, v20
	v_sub_f16_e32 v46, v46, v54
	v_add_f16_e32 v20, v41, v45
	v_add_f16_e32 v41, v17, v22
	v_fma_f16 v37, -0.5, v51, v15
	v_fmac_f16_e32 v44, 0x34f2, v7
	v_fmac_f16_e32 v23, 0x34f2, v7
	v_sub_f16_e32 v7, v16, v17
	v_fma_f16 v41, -0.5, v41, v15
	v_add_f16_e32 v15, v15, v16
	v_sub_f16_e32 v45, v18, v22
	v_fmamk_f16 v51, v43, 0x3b9c, v37
	v_fmac_f16_e32 v37, 0xbb9c, v43
	v_add_f16_e32 v9, v60, v9
	v_add_f16_e32 v15, v17, v15
	;; [unrolled: 1-line block ×3, first 2 shown]
	v_mov_b32_e32 v7, v8
	v_fmac_f16_e32 v37, 0x38b4, v46
	v_add_f16_e32 v9, v54, v9
	v_add_f16_e32 v15, v15, v22
	v_fmac_f16_e32 v73, 0x34f2, v81
	v_lshlrev_b64_e32 v[6:7], 2, v[6:7]
	v_fmac_f16_e32 v37, 0x34f2, v20
	v_fmamk_f16 v54, v46, 0xbb9c, v41
	v_add_f16_e32 v15, v15, v18
	v_fmac_f16_e32 v41, 0x3b9c, v46
	v_pack_b32_f16 v17, v21, v28
	v_add_co_u32 v4, vcc_lo, v4, v6
	s_wait_alu 0xfffd
	v_add_co_ci_u32_e32 v5, vcc_lo, v5, v7, vcc_lo
	v_pack_b32_f16 v6, v15, v9
	v_pack_b32_f16 v22, v25, v66
	;; [unrolled: 1-line block ×4, first 2 shown]
	v_fmac_f16_e32 v41, 0x38b4, v43
	s_clause 0x2
	global_store_b32 v[4:5], v6, off
	global_store_b32 v[4:5], v17, off offset:500
	global_store_b32 v[4:5], v22, off offset:1000
	v_pack_b32_f16 v6, v50, v73
	s_clause 0x2
	global_store_b32 v[4:5], v7, off offset:6000
	global_store_b32 v[4:5], v19, off offset:6500
	;; [unrolled: 1-line block ×3, first 2 shown]
	v_lshrrev_b32_e32 v6, 4, v10
	v_fmac_f16_e32 v51, 0xb8b4, v46
	v_fmac_f16_e32 v41, 0x34f2, v16
	v_fmac_f16_e32 v70, 0x34f2, v81
	v_pack_b32_f16 v18, v48, v32
	v_mul_u32_u24_e32 v7, 0xbb8, v6
	v_fmac_f16_e32 v51, 0x34f2, v20
	v_pack_b32_f16 v9, v41, v23
	v_pack_b32_f16 v23, v26, v77
	;; [unrolled: 1-line block ×3, first 2 shown]
	v_lshlrev_b64_e32 v[6:7], 2, v[7:8]
	v_pack_b32_f16 v15, v51, v42
	v_pack_b32_f16 v20, v53, v47
	global_store_b32 v[4:5], v23, off offset:1500
	v_pack_b32_f16 v23, v83, v30
	v_pack_b32_f16 v22, v82, v78
	;; [unrolled: 1-line block ×3, first 2 shown]
	s_clause 0x4
	global_store_b32 v[4:5], v9, off offset:3000
	global_store_b32 v[4:5], v18, off offset:3500
	;; [unrolled: 1-line block ×5, first 2 shown]
	v_pack_b32_f16 v9, v40, v76
	s_clause 0x3
	global_store_b32 v[4:5], v15, off offset:9000
	global_store_b32 v[4:5], v20, off offset:9500
	;; [unrolled: 1-line block ×4, first 2 shown]
	v_add_co_u32 v9, vcc_lo, v4, v6
	v_lshrrev_b32_e32 v6, 4, v11
	v_fmac_f16_e32 v54, 0xb8b4, v43
	s_wait_alu 0xfffd
	v_add_co_ci_u32_e32 v10, vcc_lo, v5, v7, vcc_lo
	v_pack_b32_f16 v21, v59, v49
	v_mul_u32_u24_e32 v7, 0xbb8, v6
	v_fmac_f16_e32 v54, 0x34f2, v16
	v_pack_b32_f16 v19, v55, v52
	v_pack_b32_f16 v15, v36, v75
	;; [unrolled: 1-line block ×3, first 2 shown]
	v_lshlrev_b64_e32 v[6:7], 2, v[7:8]
	v_pack_b32_f16 v16, v54, v44
	s_clause 0x3
	global_store_b32 v[4:5], v16, off offset:12000
	global_store_b32 v[4:5], v21, off offset:12500
	;; [unrolled: 1-line block ×4, first 2 shown]
	v_add_co_u32 v4, vcc_lo, v4, v6
	s_wait_alu 0xfffd
	v_add_co_ci_u32_e32 v5, vcc_lo, v5, v7, vcc_lo
	v_pack_b32_f16 v6, v57, v65
	v_pack_b32_f16 v15, v27, v29
	;; [unrolled: 1-line block ×6, first 2 shown]
	s_clause 0x9
	global_store_b32 v[9:10], v11, off offset:2000
	global_store_b32 v[9:10], v15, off offset:5000
	;; [unrolled: 1-line block ×10, first 2 shown]
.LBB0_13:
	s_nop 0
	s_sendmsg sendmsg(MSG_DEALLOC_VGPRS)
	s_endpgm
	.section	.rodata,"a",@progbits
	.p2align	6, 0x0
	.amdhsa_kernel fft_rtc_fwd_len3750_factors_3_5_5_10_5_wgs_125_tpt_125_halfLds_half_ip_CI_unitstride_sbrr_dirReg
		.amdhsa_group_segment_fixed_size 0
		.amdhsa_private_segment_fixed_size 0
		.amdhsa_kernarg_size 88
		.amdhsa_user_sgpr_count 2
		.amdhsa_user_sgpr_dispatch_ptr 0
		.amdhsa_user_sgpr_queue_ptr 0
		.amdhsa_user_sgpr_kernarg_segment_ptr 1
		.amdhsa_user_sgpr_dispatch_id 0
		.amdhsa_user_sgpr_private_segment_size 0
		.amdhsa_wavefront_size32 1
		.amdhsa_uses_dynamic_stack 0
		.amdhsa_enable_private_segment 0
		.amdhsa_system_sgpr_workgroup_id_x 1
		.amdhsa_system_sgpr_workgroup_id_y 0
		.amdhsa_system_sgpr_workgroup_id_z 0
		.amdhsa_system_sgpr_workgroup_info 0
		.amdhsa_system_vgpr_workitem_id 0
		.amdhsa_next_free_vgpr 111
		.amdhsa_next_free_sgpr 32
		.amdhsa_reserve_vcc 1
		.amdhsa_float_round_mode_32 0
		.amdhsa_float_round_mode_16_64 0
		.amdhsa_float_denorm_mode_32 3
		.amdhsa_float_denorm_mode_16_64 3
		.amdhsa_fp16_overflow 0
		.amdhsa_workgroup_processor_mode 1
		.amdhsa_memory_ordered 1
		.amdhsa_forward_progress 0
		.amdhsa_round_robin_scheduling 0
		.amdhsa_exception_fp_ieee_invalid_op 0
		.amdhsa_exception_fp_denorm_src 0
		.amdhsa_exception_fp_ieee_div_zero 0
		.amdhsa_exception_fp_ieee_overflow 0
		.amdhsa_exception_fp_ieee_underflow 0
		.amdhsa_exception_fp_ieee_inexact 0
		.amdhsa_exception_int_div_zero 0
	.end_amdhsa_kernel
	.text
.Lfunc_end0:
	.size	fft_rtc_fwd_len3750_factors_3_5_5_10_5_wgs_125_tpt_125_halfLds_half_ip_CI_unitstride_sbrr_dirReg, .Lfunc_end0-fft_rtc_fwd_len3750_factors_3_5_5_10_5_wgs_125_tpt_125_halfLds_half_ip_CI_unitstride_sbrr_dirReg
                                        ; -- End function
	.section	.AMDGPU.csdata,"",@progbits
; Kernel info:
; codeLenInByte = 20852
; NumSgprs: 34
; NumVgprs: 111
; ScratchSize: 0
; MemoryBound: 0
; FloatMode: 240
; IeeeMode: 1
; LDSByteSize: 0 bytes/workgroup (compile time only)
; SGPRBlocks: 4
; VGPRBlocks: 13
; NumSGPRsForWavesPerEU: 34
; NumVGPRsForWavesPerEU: 111
; Occupancy: 12
; WaveLimiterHint : 1
; COMPUTE_PGM_RSRC2:SCRATCH_EN: 0
; COMPUTE_PGM_RSRC2:USER_SGPR: 2
; COMPUTE_PGM_RSRC2:TRAP_HANDLER: 0
; COMPUTE_PGM_RSRC2:TGID_X_EN: 1
; COMPUTE_PGM_RSRC2:TGID_Y_EN: 0
; COMPUTE_PGM_RSRC2:TGID_Z_EN: 0
; COMPUTE_PGM_RSRC2:TIDIG_COMP_CNT: 0
	.text
	.p2alignl 7, 3214868480
	.fill 96, 4, 3214868480
	.type	__hip_cuid_772dba059a2568c0,@object ; @__hip_cuid_772dba059a2568c0
	.section	.bss,"aw",@nobits
	.globl	__hip_cuid_772dba059a2568c0
__hip_cuid_772dba059a2568c0:
	.byte	0                               ; 0x0
	.size	__hip_cuid_772dba059a2568c0, 1

	.ident	"AMD clang version 19.0.0git (https://github.com/RadeonOpenCompute/llvm-project roc-6.4.0 25133 c7fe45cf4b819c5991fe208aaa96edf142730f1d)"
	.section	".note.GNU-stack","",@progbits
	.addrsig
	.addrsig_sym __hip_cuid_772dba059a2568c0
	.amdgpu_metadata
---
amdhsa.kernels:
  - .args:
      - .actual_access:  read_only
        .address_space:  global
        .offset:         0
        .size:           8
        .value_kind:     global_buffer
      - .offset:         8
        .size:           8
        .value_kind:     by_value
      - .actual_access:  read_only
        .address_space:  global
        .offset:         16
        .size:           8
        .value_kind:     global_buffer
      - .actual_access:  read_only
        .address_space:  global
        .offset:         24
        .size:           8
        .value_kind:     global_buffer
      - .offset:         32
        .size:           8
        .value_kind:     by_value
      - .actual_access:  read_only
        .address_space:  global
        .offset:         40
        .size:           8
        .value_kind:     global_buffer
      - .actual_access:  read_only
        .address_space:  global
        .offset:         48
        .size:           8
        .value_kind:     global_buffer
      - .offset:         56
        .size:           4
        .value_kind:     by_value
      - .actual_access:  read_only
        .address_space:  global
        .offset:         64
        .size:           8
        .value_kind:     global_buffer
      - .actual_access:  read_only
        .address_space:  global
        .offset:         72
        .size:           8
        .value_kind:     global_buffer
      - .address_space:  global
        .offset:         80
        .size:           8
        .value_kind:     global_buffer
    .group_segment_fixed_size: 0
    .kernarg_segment_align: 8
    .kernarg_segment_size: 88
    .language:       OpenCL C
    .language_version:
      - 2
      - 0
    .max_flat_workgroup_size: 125
    .name:           fft_rtc_fwd_len3750_factors_3_5_5_10_5_wgs_125_tpt_125_halfLds_half_ip_CI_unitstride_sbrr_dirReg
    .private_segment_fixed_size: 0
    .sgpr_count:     34
    .sgpr_spill_count: 0
    .symbol:         fft_rtc_fwd_len3750_factors_3_5_5_10_5_wgs_125_tpt_125_halfLds_half_ip_CI_unitstride_sbrr_dirReg.kd
    .uniform_work_group_size: 1
    .uses_dynamic_stack: false
    .vgpr_count:     111
    .vgpr_spill_count: 0
    .wavefront_size: 32
    .workgroup_processor_mode: 1
amdhsa.target:   amdgcn-amd-amdhsa--gfx1201
amdhsa.version:
  - 1
  - 2
...

	.end_amdgpu_metadata
